;; amdgpu-corpus repo=ROCm/rocFFT kind=compiled arch=gfx906 opt=O3
	.text
	.amdgcn_target "amdgcn-amd-amdhsa--gfx906"
	.amdhsa_code_object_version 6
	.protected	fft_rtc_back_len1734_factors_17_17_6_wgs_102_tpt_102_halfLds_half_ip_CI_unitstride_sbrr_C2R_dirReg ; -- Begin function fft_rtc_back_len1734_factors_17_17_6_wgs_102_tpt_102_halfLds_half_ip_CI_unitstride_sbrr_C2R_dirReg
	.globl	fft_rtc_back_len1734_factors_17_17_6_wgs_102_tpt_102_halfLds_half_ip_CI_unitstride_sbrr_C2R_dirReg
	.p2align	8
	.type	fft_rtc_back_len1734_factors_17_17_6_wgs_102_tpt_102_halfLds_half_ip_CI_unitstride_sbrr_C2R_dirReg,@function
fft_rtc_back_len1734_factors_17_17_6_wgs_102_tpt_102_halfLds_half_ip_CI_unitstride_sbrr_C2R_dirReg: ; @fft_rtc_back_len1734_factors_17_17_6_wgs_102_tpt_102_halfLds_half_ip_CI_unitstride_sbrr_C2R_dirReg
; %bb.0:
	s_load_dwordx2 s[2:3], s[4:5], 0x50
	s_load_dwordx4 s[8:11], s[4:5], 0x0
	s_load_dwordx2 s[12:13], s[4:5], 0x18
	v_mul_u32_u24_e32 v1, 0x283, v0
	v_add_u32_sdwa v5, s6, v1 dst_sel:DWORD dst_unused:UNUSED_PAD src0_sel:DWORD src1_sel:WORD_1
	v_mov_b32_e32 v3, 0
	s_waitcnt lgkmcnt(0)
	v_cmp_lt_u64_e64 s[0:1], s[10:11], 2
	v_mov_b32_e32 v1, 0
	v_mov_b32_e32 v6, v3
	s_and_b64 vcc, exec, s[0:1]
	v_mov_b32_e32 v2, 0
	s_cbranch_vccnz .LBB0_8
; %bb.1:
	s_load_dwordx2 s[0:1], s[4:5], 0x10
	s_add_u32 s6, s12, 8
	s_addc_u32 s7, s13, 0
	v_mov_b32_e32 v1, 0
	v_mov_b32_e32 v2, 0
	s_waitcnt lgkmcnt(0)
	s_add_u32 s14, s0, 8
	s_addc_u32 s15, s1, 0
	s_mov_b64 s[16:17], 1
.LBB0_2:                                ; =>This Inner Loop Header: Depth=1
	s_load_dwordx2 s[18:19], s[14:15], 0x0
                                        ; implicit-def: $vgpr7_vgpr8
	s_waitcnt lgkmcnt(0)
	v_or_b32_e32 v4, s19, v6
	v_cmp_ne_u64_e32 vcc, 0, v[3:4]
	s_and_saveexec_b64 s[0:1], vcc
	s_xor_b64 s[20:21], exec, s[0:1]
	s_cbranch_execz .LBB0_4
; %bb.3:                                ;   in Loop: Header=BB0_2 Depth=1
	v_cvt_f32_u32_e32 v4, s18
	v_cvt_f32_u32_e32 v7, s19
	s_sub_u32 s0, 0, s18
	s_subb_u32 s1, 0, s19
	v_mac_f32_e32 v4, 0x4f800000, v7
	v_rcp_f32_e32 v4, v4
	v_mul_f32_e32 v4, 0x5f7ffffc, v4
	v_mul_f32_e32 v7, 0x2f800000, v4
	v_trunc_f32_e32 v7, v7
	v_mac_f32_e32 v4, 0xcf800000, v7
	v_cvt_u32_f32_e32 v7, v7
	v_cvt_u32_f32_e32 v4, v4
	v_mul_lo_u32 v8, s0, v7
	v_mul_hi_u32 v9, s0, v4
	v_mul_lo_u32 v11, s1, v4
	v_mul_lo_u32 v10, s0, v4
	v_add_u32_e32 v8, v9, v8
	v_add_u32_e32 v8, v8, v11
	v_mul_hi_u32 v9, v4, v10
	v_mul_lo_u32 v11, v4, v8
	v_mul_hi_u32 v13, v4, v8
	v_mul_hi_u32 v12, v7, v10
	v_mul_lo_u32 v10, v7, v10
	v_mul_hi_u32 v14, v7, v8
	v_add_co_u32_e32 v9, vcc, v9, v11
	v_addc_co_u32_e32 v11, vcc, 0, v13, vcc
	v_mul_lo_u32 v8, v7, v8
	v_add_co_u32_e32 v9, vcc, v9, v10
	v_addc_co_u32_e32 v9, vcc, v11, v12, vcc
	v_addc_co_u32_e32 v10, vcc, 0, v14, vcc
	v_add_co_u32_e32 v8, vcc, v9, v8
	v_addc_co_u32_e32 v9, vcc, 0, v10, vcc
	v_add_co_u32_e32 v4, vcc, v4, v8
	v_addc_co_u32_e32 v7, vcc, v7, v9, vcc
	v_mul_lo_u32 v8, s0, v7
	v_mul_hi_u32 v9, s0, v4
	v_mul_lo_u32 v10, s1, v4
	v_mul_lo_u32 v11, s0, v4
	v_add_u32_e32 v8, v9, v8
	v_add_u32_e32 v8, v8, v10
	v_mul_lo_u32 v12, v4, v8
	v_mul_hi_u32 v13, v4, v11
	v_mul_hi_u32 v14, v4, v8
	;; [unrolled: 1-line block ×3, first 2 shown]
	v_mul_lo_u32 v11, v7, v11
	v_mul_hi_u32 v9, v7, v8
	v_add_co_u32_e32 v12, vcc, v13, v12
	v_addc_co_u32_e32 v13, vcc, 0, v14, vcc
	v_mul_lo_u32 v8, v7, v8
	v_add_co_u32_e32 v11, vcc, v12, v11
	v_addc_co_u32_e32 v10, vcc, v13, v10, vcc
	v_addc_co_u32_e32 v9, vcc, 0, v9, vcc
	v_add_co_u32_e32 v8, vcc, v10, v8
	v_addc_co_u32_e32 v9, vcc, 0, v9, vcc
	v_add_co_u32_e32 v4, vcc, v4, v8
	v_addc_co_u32_e32 v9, vcc, v7, v9, vcc
	v_mad_u64_u32 v[7:8], s[0:1], v5, v9, 0
	v_mul_hi_u32 v10, v5, v4
	v_add_co_u32_e32 v11, vcc, v10, v7
	v_addc_co_u32_e32 v12, vcc, 0, v8, vcc
	v_mad_u64_u32 v[7:8], s[0:1], v6, v4, 0
	v_mad_u64_u32 v[9:10], s[0:1], v6, v9, 0
	v_add_co_u32_e32 v4, vcc, v11, v7
	v_addc_co_u32_e32 v4, vcc, v12, v8, vcc
	v_addc_co_u32_e32 v7, vcc, 0, v10, vcc
	v_add_co_u32_e32 v4, vcc, v4, v9
	v_addc_co_u32_e32 v9, vcc, 0, v7, vcc
	v_mul_lo_u32 v10, s19, v4
	v_mul_lo_u32 v11, s18, v9
	v_mad_u64_u32 v[7:8], s[0:1], s18, v4, 0
	v_add3_u32 v8, v8, v11, v10
	v_sub_u32_e32 v10, v6, v8
	v_mov_b32_e32 v11, s19
	v_sub_co_u32_e32 v7, vcc, v5, v7
	v_subb_co_u32_e64 v10, s[0:1], v10, v11, vcc
	v_subrev_co_u32_e64 v11, s[0:1], s18, v7
	v_subbrev_co_u32_e64 v10, s[0:1], 0, v10, s[0:1]
	v_cmp_le_u32_e64 s[0:1], s19, v10
	v_cndmask_b32_e64 v12, 0, -1, s[0:1]
	v_cmp_le_u32_e64 s[0:1], s18, v11
	v_cndmask_b32_e64 v11, 0, -1, s[0:1]
	v_cmp_eq_u32_e64 s[0:1], s19, v10
	v_cndmask_b32_e64 v10, v12, v11, s[0:1]
	v_add_co_u32_e64 v11, s[0:1], 2, v4
	v_addc_co_u32_e64 v12, s[0:1], 0, v9, s[0:1]
	v_add_co_u32_e64 v13, s[0:1], 1, v4
	v_addc_co_u32_e64 v14, s[0:1], 0, v9, s[0:1]
	v_subb_co_u32_e32 v8, vcc, v6, v8, vcc
	v_cmp_ne_u32_e64 s[0:1], 0, v10
	v_cmp_le_u32_e32 vcc, s19, v8
	v_cndmask_b32_e64 v10, v14, v12, s[0:1]
	v_cndmask_b32_e64 v12, 0, -1, vcc
	v_cmp_le_u32_e32 vcc, s18, v7
	v_cndmask_b32_e64 v7, 0, -1, vcc
	v_cmp_eq_u32_e32 vcc, s19, v8
	v_cndmask_b32_e32 v7, v12, v7, vcc
	v_cmp_ne_u32_e32 vcc, 0, v7
	v_cndmask_b32_e64 v7, v13, v11, s[0:1]
	v_cndmask_b32_e32 v8, v9, v10, vcc
	v_cndmask_b32_e32 v7, v4, v7, vcc
.LBB0_4:                                ;   in Loop: Header=BB0_2 Depth=1
	s_andn2_saveexec_b64 s[0:1], s[20:21]
	s_cbranch_execz .LBB0_6
; %bb.5:                                ;   in Loop: Header=BB0_2 Depth=1
	v_cvt_f32_u32_e32 v4, s18
	s_sub_i32 s20, 0, s18
	v_rcp_iflag_f32_e32 v4, v4
	v_mul_f32_e32 v4, 0x4f7ffffe, v4
	v_cvt_u32_f32_e32 v4, v4
	v_mul_lo_u32 v7, s20, v4
	v_mul_hi_u32 v7, v4, v7
	v_add_u32_e32 v4, v4, v7
	v_mul_hi_u32 v4, v5, v4
	v_mul_lo_u32 v7, v4, s18
	v_add_u32_e32 v8, 1, v4
	v_sub_u32_e32 v7, v5, v7
	v_subrev_u32_e32 v9, s18, v7
	v_cmp_le_u32_e32 vcc, s18, v7
	v_cndmask_b32_e32 v7, v7, v9, vcc
	v_cndmask_b32_e32 v4, v4, v8, vcc
	v_add_u32_e32 v8, 1, v4
	v_cmp_le_u32_e32 vcc, s18, v7
	v_cndmask_b32_e32 v7, v4, v8, vcc
	v_mov_b32_e32 v8, v3
.LBB0_6:                                ;   in Loop: Header=BB0_2 Depth=1
	s_or_b64 exec, exec, s[0:1]
	v_mul_lo_u32 v4, v8, s18
	v_mul_lo_u32 v11, v7, s19
	v_mad_u64_u32 v[9:10], s[0:1], v7, s18, 0
	s_load_dwordx2 s[0:1], s[6:7], 0x0
	s_add_u32 s16, s16, 1
	v_add3_u32 v4, v10, v11, v4
	v_sub_co_u32_e32 v5, vcc, v5, v9
	v_subb_co_u32_e32 v4, vcc, v6, v4, vcc
	s_waitcnt lgkmcnt(0)
	v_mul_lo_u32 v4, s0, v4
	v_mul_lo_u32 v6, s1, v5
	v_mad_u64_u32 v[1:2], s[0:1], s0, v5, v[1:2]
	s_addc_u32 s17, s17, 0
	s_add_u32 s6, s6, 8
	v_add3_u32 v2, v6, v2, v4
	v_mov_b32_e32 v4, s10
	v_mov_b32_e32 v5, s11
	s_addc_u32 s7, s7, 0
	v_cmp_ge_u64_e32 vcc, s[16:17], v[4:5]
	s_add_u32 s14, s14, 8
	s_addc_u32 s15, s15, 0
	s_cbranch_vccnz .LBB0_9
; %bb.7:                                ;   in Loop: Header=BB0_2 Depth=1
	v_mov_b32_e32 v5, v7
	v_mov_b32_e32 v6, v8
	s_branch .LBB0_2
.LBB0_8:
	v_mov_b32_e32 v8, v6
	v_mov_b32_e32 v7, v5
.LBB0_9:
	s_lshl_b64 s[0:1], s[10:11], 3
	s_add_u32 s0, s12, s0
	s_addc_u32 s1, s13, s1
	s_load_dwordx2 s[6:7], s[0:1], 0x0
	s_load_dwordx2 s[10:11], s[4:5], 0x20
	s_waitcnt lgkmcnt(0)
	v_mad_u64_u32 v[1:2], s[0:1], s6, v7, v[1:2]
	v_mul_lo_u32 v3, s6, v8
	v_mul_lo_u32 v4, s7, v7
	s_mov_b32 s0, 0x2828283
	v_mul_hi_u32 v5, v0, s0
	v_cmp_gt_u64_e64 s[0:1], s[10:11], v[7:8]
	v_add3_u32 v2, v4, v2, v3
	v_lshlrev_b64 v[2:3], 2, v[1:2]
	v_mul_u32_u24_e32 v4, 0x66, v5
	v_sub_u32_e32 v0, v0, v4
	s_and_saveexec_b64 s[4:5], s[0:1]
	s_cbranch_execz .LBB0_13
; %bb.10:
	v_mov_b32_e32 v1, 0
	v_mov_b32_e32 v4, s3
	v_add_co_u32_e32 v5, vcc, s2, v2
	v_lshlrev_b64 v[6:7], 2, v[0:1]
	v_addc_co_u32_e32 v4, vcc, v4, v3, vcc
	v_add_co_u32_e32 v6, vcc, v5, v6
	v_addc_co_u32_e32 v7, vcc, v4, v7, vcc
	s_movk_i32 s6, 0x1000
	v_add_co_u32_e32 v8, vcc, s6, v6
	global_load_dword v10, v[6:7], off
	global_load_dword v11, v[6:7], off offset:408
	global_load_dword v12, v[6:7], off offset:816
	;; [unrolled: 1-line block ×7, first 2 shown]
	v_addc_co_u32_e32 v9, vcc, 0, v7, vcc
	global_load_dword v18, v[6:7], off offset:3264
	global_load_dword v19, v[6:7], off offset:3672
	;; [unrolled: 1-line block ×9, first 2 shown]
	v_lshl_add_u32 v6, v0, 2, 0
	s_movk_i32 s6, 0x65
	v_add_u32_e32 v7, 0x200, v6
	v_cmp_eq_u32_e32 vcc, s6, v0
	v_add_u32_e32 v8, 0x400, v6
	v_add_u32_e32 v9, 0x800, v6
	;; [unrolled: 1-line block ×6, first 2 shown]
	s_waitcnt vmcnt(13)
	ds_write2_b32 v7, v12, v13 offset0:76 offset1:178
	ds_write2_b32 v6, v10, v11 offset1:102
	s_waitcnt vmcnt(11)
	ds_write2_b32 v8, v14, v15 offset0:152 offset1:254
	s_waitcnt vmcnt(9)
	ds_write2_b32 v9, v16, v17 offset0:100 offset1:202
	;; [unrolled: 2-line block ×6, first 2 shown]
	s_waitcnt vmcnt(0)
	ds_write_b32 v6, v26 offset:6528
	s_and_saveexec_b64 s[6:7], vcc
	s_cbranch_execz .LBB0_12
; %bb.11:
	v_add_co_u32_e32 v5, vcc, 0x1000, v5
	v_addc_co_u32_e32 v6, vcc, 0, v4, vcc
	global_load_dword v0, v[5:6], off offset:2840
	s_waitcnt vmcnt(0)
	ds_write_b32 v1, v0 offset:6936
	v_mov_b32_e32 v0, 0x65
.LBB0_12:
	s_or_b64 exec, exec, s[6:7]
.LBB0_13:
	s_or_b64 exec, exec, s[4:5]
	v_lshlrev_b32_e32 v1, 2, v0
	v_add_u32_e32 v16, 0, v1
	s_waitcnt lgkmcnt(0)
	s_barrier
	v_sub_u32_e32 v6, 0, v1
	ds_read_u16 v9, v16
	ds_read_u16 v10, v6 offset:6936
	s_add_u32 s6, s8, 0x1ad4
	s_addc_u32 s7, s9, 0
	v_cmp_ne_u32_e32 vcc, 0, v0
                                        ; implicit-def: $vgpr4_vgpr5
	s_waitcnt lgkmcnt(0)
	v_add_f16_e32 v7, v10, v9
	v_sub_f16_e32 v8, v9, v10
	s_and_saveexec_b64 s[4:5], vcc
	s_xor_b64 s[4:5], exec, s[4:5]
	s_cbranch_execz .LBB0_15
; %bb.14:
	v_mov_b32_e32 v1, 0
	v_lshlrev_b64 v[4:5], 2, v[0:1]
	v_mov_b32_e32 v7, s7
	v_add_co_u32_e32 v4, vcc, s6, v4
	v_addc_co_u32_e32 v5, vcc, v7, v5, vcc
	global_load_dword v4, v[4:5], off
	ds_read_u16 v5, v6 offset:6938
	ds_read_u16 v7, v16 offset:2
	v_add_f16_e32 v8, v10, v9
	v_sub_f16_e32 v9, v9, v10
	s_waitcnt lgkmcnt(0)
	v_add_f16_e32 v10, v5, v7
	v_sub_f16_e32 v5, v7, v5
	s_waitcnt vmcnt(0)
	v_lshrrev_b32_e32 v7, 16, v4
	v_fma_f16 v11, v9, v7, v8
	v_fma_f16 v12, v10, v7, v5
	v_fma_f16 v13, -v9, v7, v8
	v_fma_f16 v5, v10, v7, -v5
	v_fma_f16 v7, -v4, v10, v11
	v_fma_f16 v8, v9, v4, v12
	v_fma_f16 v10, v4, v10, v13
	;; [unrolled: 1-line block ×3, first 2 shown]
	v_pack_b32_f16 v4, v10, v4
	ds_write_b32 v6, v4 offset:6936
	v_mov_b32_e32 v5, v1
	v_mov_b32_e32 v4, v0
.LBB0_15:
	s_andn2_saveexec_b64 s[4:5], s[4:5]
	s_cbranch_execz .LBB0_17
; %bb.16:
	v_mov_b32_e32 v1, 0
	ds_read_b32 v4, v1 offset:3468
	s_mov_b32 s10, 0xc0004000
	s_waitcnt lgkmcnt(0)
	v_pk_mul_f16 v9, v4, s10
	v_mov_b32_e32 v4, 0
	v_mov_b32_e32 v5, 0
	ds_write_b32 v1, v9 offset:3468
.LBB0_17:
	s_or_b64 exec, exec, s[4:5]
	v_lshlrev_b64 v[4:5], 2, v[4:5]
	v_mov_b32_e32 v1, s7
	v_add_co_u32_e32 v4, vcc, s6, v4
	v_addc_co_u32_e32 v5, vcc, v1, v5, vcc
	global_load_dword v1, v[4:5], off offset:408
	global_load_dword v9, v[4:5], off offset:816
	;; [unrolled: 1-line block ×4, first 2 shown]
	s_mov_b32 s4, 0x5040100
	v_perm_b32 v7, v8, v7, s4
	ds_write_b32 v16, v7
	ds_read_b32 v7, v16 offset:408
	ds_read_b32 v8, v6 offset:6528
	global_load_dword v12, v[4:5], off offset:2040
	global_load_dword v13, v[4:5], off offset:2448
	;; [unrolled: 1-line block ×3, first 2 shown]
	v_cmp_gt_u32_e32 vcc, 51, v0
	s_waitcnt lgkmcnt(0)
	v_add_f16_e32 v15, v7, v8
	v_add_f16_sdwa v17, v8, v7 dst_sel:DWORD dst_unused:UNUSED_PAD src0_sel:WORD_1 src1_sel:WORD_1
	v_sub_f16_e32 v18, v7, v8
	v_sub_f16_sdwa v7, v7, v8 dst_sel:DWORD dst_unused:UNUSED_PAD src0_sel:WORD_1 src1_sel:WORD_1
	s_waitcnt vmcnt(6)
	v_lshrrev_b32_e32 v8, 16, v1
	v_fma_f16 v19, v18, v8, v15
	v_fma_f16 v20, v17, v8, v7
	v_fma_f16 v15, -v18, v8, v15
	v_fma_f16 v7, v17, v8, -v7
	v_fma_f16 v8, -v1, v17, v19
	v_fma_f16 v19, v18, v1, v20
	v_fma_f16 v15, v1, v17, v15
	v_fma_f16 v1, v18, v1, v7
	v_pack_b32_f16 v7, v8, v19
	v_pack_b32_f16 v1, v15, v1
	ds_write_b32 v16, v7 offset:408
	ds_write_b32 v6, v1 offset:6528
	ds_read_b32 v1, v16 offset:816
	ds_read_b32 v7, v6 offset:6120
	s_waitcnt vmcnt(5)
	v_lshrrev_b32_e32 v8, 16, v9
	s_waitcnt lgkmcnt(0)
	v_add_f16_e32 v15, v1, v7
	v_add_f16_sdwa v17, v7, v1 dst_sel:DWORD dst_unused:UNUSED_PAD src0_sel:WORD_1 src1_sel:WORD_1
	v_sub_f16_e32 v18, v1, v7
	v_sub_f16_sdwa v1, v1, v7 dst_sel:DWORD dst_unused:UNUSED_PAD src0_sel:WORD_1 src1_sel:WORD_1
	v_fma_f16 v7, v18, v8, v15
	v_fma_f16 v19, v17, v8, v1
	v_fma_f16 v15, -v18, v8, v15
	v_fma_f16 v1, v17, v8, -v1
	v_fma_f16 v7, -v9, v17, v7
	v_fma_f16 v8, v18, v9, v19
	v_fma_f16 v15, v9, v17, v15
	v_fma_f16 v1, v18, v9, v1
	v_pack_b32_f16 v7, v7, v8
	v_pack_b32_f16 v1, v15, v1
	ds_write_b32 v16, v7 offset:816
	ds_write_b32 v6, v1 offset:6120
	ds_read_b32 v1, v16 offset:1224
	ds_read_b32 v7, v6 offset:5712
	s_waitcnt vmcnt(4)
	v_lshrrev_b32_e32 v8, 16, v10
	s_waitcnt lgkmcnt(0)
	v_add_f16_e32 v9, v1, v7
	v_add_f16_sdwa v15, v7, v1 dst_sel:DWORD dst_unused:UNUSED_PAD src0_sel:WORD_1 src1_sel:WORD_1
	v_sub_f16_e32 v17, v1, v7
	v_sub_f16_sdwa v1, v1, v7 dst_sel:DWORD dst_unused:UNUSED_PAD src0_sel:WORD_1 src1_sel:WORD_1
	;; [unrolled: 21-line block ×6, first 2 shown]
	v_fma_f16 v7, v11, v8, v9
	v_fma_f16 v12, v10, v8, v1
	v_fma_f16 v9, -v11, v8, v9
	v_fma_f16 v1, v10, v8, -v1
	v_fma_f16 v7, -v14, v10, v7
	v_fma_f16 v8, v11, v14, v12
	v_fma_f16 v9, v14, v10, v9
	;; [unrolled: 1-line block ×3, first 2 shown]
	v_pack_b32_f16 v7, v7, v8
	v_pack_b32_f16 v1, v9, v1
	ds_write_b32 v16, v7 offset:2856
	ds_write_b32 v6, v1 offset:4080
	s_and_saveexec_b64 s[4:5], vcc
	s_cbranch_execz .LBB0_19
; %bb.18:
	global_load_dword v1, v[4:5], off offset:3264
	ds_read_b32 v4, v16 offset:3264
	ds_read_b32 v5, v6 offset:3672
	s_waitcnt lgkmcnt(0)
	v_add_f16_e32 v7, v4, v5
	v_add_f16_sdwa v8, v5, v4 dst_sel:DWORD dst_unused:UNUSED_PAD src0_sel:WORD_1 src1_sel:WORD_1
	v_sub_f16_e32 v9, v4, v5
	v_sub_f16_sdwa v4, v4, v5 dst_sel:DWORD dst_unused:UNUSED_PAD src0_sel:WORD_1 src1_sel:WORD_1
	s_waitcnt vmcnt(0)
	v_lshrrev_b32_e32 v5, 16, v1
	v_fma_f16 v10, v9, v5, v7
	v_fma_f16 v11, v8, v5, v4
	v_fma_f16 v7, -v9, v5, v7
	v_fma_f16 v4, v8, v5, -v4
	v_fma_f16 v5, -v1, v8, v10
	v_fma_f16 v10, v9, v1, v11
	v_fma_f16 v7, v1, v8, v7
	;; [unrolled: 1-line block ×3, first 2 shown]
	v_pack_b32_f16 v4, v5, v10
	v_pack_b32_f16 v1, v7, v1
	ds_write_b32 v16, v4 offset:3264
	ds_write_b32 v6, v1 offset:3672
.LBB0_19:
	s_or_b64 exec, exec, s[4:5]
	s_waitcnt lgkmcnt(0)
	s_barrier
	s_barrier
	ds_read2_b32 v[14:15], v16 offset1:102
	v_add_u32_e32 v10, 0x200, v16
	ds_read2_b32 v[19:20], v10 offset0:76 offset1:178
	v_add_u32_e32 v1, 0x400, v16
	ds_read2_b32 v[21:22], v1 offset0:152 offset1:254
	s_waitcnt lgkmcnt(2)
	v_add_f16_e32 v4, v14, v15
	v_add_f16_sdwa v5, v14, v15 dst_sel:DWORD dst_unused:UNUSED_PAD src0_sel:WORD_1 src1_sel:WORD_1
	v_add_u32_e32 v17, 0x800, v16
	s_waitcnt lgkmcnt(1)
	v_add_f16_e32 v4, v4, v19
	v_add_f16_sdwa v5, v5, v19 dst_sel:DWORD dst_unused:UNUSED_PAD src0_sel:DWORD src1_sel:WORD_1
	ds_read2_b32 v[6:7], v17 offset0:100 offset1:202
	v_add_f16_e32 v4, v4, v20
	v_add_f16_sdwa v5, v5, v20 dst_sel:DWORD dst_unused:UNUSED_PAD src0_sel:DWORD src1_sel:WORD_1
	s_waitcnt lgkmcnt(1)
	v_add_f16_e32 v4, v4, v21
	v_add_f16_sdwa v5, v5, v21 dst_sel:DWORD dst_unused:UNUSED_PAD src0_sel:DWORD src1_sel:WORD_1
	v_add_u32_e32 v18, 0xc00, v16
	v_add_f16_e32 v27, v4, v22
	v_add_f16_sdwa v28, v5, v22 dst_sel:DWORD dst_unused:UNUSED_PAD src0_sel:DWORD src1_sel:WORD_1
	ds_read2_b32 v[4:5], v18 offset0:48 offset1:150
	v_add_u32_e32 v13, 0xe00, v16
	ds_read2_b32 v[8:9], v13 offset0:124 offset1:226
	v_pack_b32_f16 v27, v27, v28
	v_add_u32_e32 v11, 0x1200, v16
	s_waitcnt lgkmcnt(2)
	v_pk_add_f16 v27, v27, v6
	ds_read2_b32 v[23:24], v11 offset0:72 offset1:174
	v_pk_add_f16 v27, v27, v7
	v_add_u32_e32 v12, 0x1400, v16
	s_waitcnt lgkmcnt(2)
	v_pk_add_f16 v27, v27, v4
	ds_read2_b32 v[25:26], v12 offset0:148 offset1:250
	ds_read_b32 v29, v16 offset:6528
	v_pk_add_f16 v27, v27, v5
	s_waitcnt lgkmcnt(3)
	v_pk_add_f16 v27, v27, v8
	v_pk_add_f16 v27, v27, v9
	s_waitcnt lgkmcnt(2)
	v_pk_add_f16 v27, v27, v23
	;; [unrolled: 3-line block ×3, first 2 shown]
	s_waitcnt lgkmcnt(0)
	v_sub_f16_sdwa v30, v15, v29 dst_sel:DWORD dst_unused:UNUSED_PAD src0_sel:WORD_1 src1_sel:WORD_1
	v_pk_add_f16 v27, v27, v26
	v_add_f16_e32 v28, v29, v15
	v_mul_f16_e32 v31, 0xb5c8, v30
	s_movk_i32 s7, 0x3b76
	v_mul_f16_e32 v33, 0xb964, v30
	s_movk_i32 s6, 0x39e9
	;; [unrolled: 2-line block ×4, first 2 shown]
	v_mul_f16_e32 v39, 0xbbb2, v30
	s_mov_b32 s10, 0xb461
	v_mul_f16_e32 v41, 0xba62, v30
	s_mov_b32 s11, 0xb8d2
	v_add_f16_e32 v43, v26, v19
	v_add_f16_sdwa v44, v26, v19 dst_sel:DWORD dst_unused:UNUSED_PAD src0_sel:WORD_1 src1_sel:WORD_1
	v_sub_f16_e32 v45, v19, v26
	v_sub_f16_sdwa v19, v19, v26 dst_sel:DWORD dst_unused:UNUSED_PAD src0_sel:WORD_1 src1_sel:WORD_1
	v_add_f16_e32 v26, v25, v20
	v_add_f16_sdwa v46, v25, v20 dst_sel:DWORD dst_unused:UNUSED_PAD src0_sel:WORD_1 src1_sel:WORD_1
	v_sub_f16_e32 v47, v20, v25
	v_sub_f16_sdwa v20, v20, v25 dst_sel:DWORD dst_unused:UNUSED_PAD src0_sel:WORD_1 src1_sel:WORD_1
	;; [unrolled: 4-line block ×4, first 2 shown]
	v_mul_f16_e32 v22, 0xb836, v30
	s_mov_b32 s18, 0xbacd
	v_mul_f16_e32 v24, 0xb1e1, v30
	s_mov_b32 s25, 0xbbdd
	v_fma_f16 v32, v28, s7, v31
	v_fma_f16 v31, v28, s7, -v31
	v_fma_f16 v34, v28, s6, v33
	v_fma_f16 v33, v28, s6, -v33
	;; [unrolled: 2-line block ×8, first 2 shown]
	v_add_f16_sdwa v28, v29, v15 dst_sel:DWORD dst_unused:UNUSED_PAD src0_sel:WORD_1 src1_sel:WORD_1
	s_mov_b32 s24, 0xb5c8
	s_movk_i32 s22, 0x35c8
	v_sub_f16_e32 v15, v15, v29
	v_mul_f16_e32 v54, 0x3b76, v28
	s_mov_b32 s20, 0xb964
	s_movk_i32 s19, 0x3964
	v_mul_f16_e32 v56, 0x39e9, v28
	s_mov_b32 s16, 0xbb29
	s_movk_i32 s15, 0x3b29
	;; [unrolled: 3-line block ×6, first 2 shown]
	v_mul_f16_e32 v66, 0xbacd, v28
	s_mov_b32 s28, 0xb1e1
	v_mul_f16_e32 v28, 0xbbdd, v28
	s_movk_i32 s29, 0x31e1
	v_fma_f16 v55, v15, s22, v54
	v_fma_f16 v54, v15, s24, v54
	;; [unrolled: 1-line block ×16, first 2 shown]
	v_add_f16_e32 v28, v14, v32
	v_add_f16_sdwa v32, v14, v55 dst_sel:DWORD dst_unused:UNUSED_PAD src0_sel:WORD_1 src1_sel:DWORD
	v_add_f16_e32 v31, v14, v31
	v_add_f16_sdwa v54, v14, v54 dst_sel:DWORD dst_unused:UNUSED_PAD src0_sel:WORD_1 src1_sel:DWORD
	;; [unrolled: 2-line block ×16, first 2 shown]
	v_pk_add_f16 v14, v27, v29
	v_mul_f16_e32 v27, 0xb964, v19
	v_fma_f16 v29, v43, s6, v27
	v_add_f16_e32 v28, v29, v28
	v_mul_f16_e32 v29, 0x39e9, v44
	v_fma_f16 v27, v43, s6, -v27
	v_fma_f16 v68, v45, s19, v29
	v_add_f16_e32 v27, v27, v31
	v_fma_f16 v29, v45, s20, v29
	v_mul_f16_e32 v31, 0xbbf7, v19
	v_add_f16_e32 v29, v29, v54
	v_fma_f16 v54, v43, s4, v31
	v_add_f16_e32 v34, v54, v34
	v_mul_f16_e32 v54, 0x2de8, v44
	v_fma_f16 v31, v43, s4, -v31
	v_add_f16_e32 v32, v68, v32
	v_fma_f16 v68, v45, s12, v54
	v_add_f16_e32 v31, v31, v33
	v_fma_f16 v33, v45, s13, v54
	v_mul_f16_e32 v54, 0xba62, v19
	v_add_f16_e32 v33, v33, v56
	v_fma_f16 v56, v43, s11, v54
	v_add_f16_e32 v36, v56, v36
	v_mul_f16_e32 v56, 0xb8d2, v44
	v_fma_f16 v54, v43, s11, -v54
	v_add_f16_e32 v55, v68, v55
	;; [unrolled: 10-line block ×5, first 2 shown]
	v_fma_f16 v68, v45, s14, v62
	v_add_f16_e32 v41, v60, v41
	v_fma_f16 v60, v45, s17, v62
	v_mul_f16_e32 v62, 0x3b29, v19
	v_add_f16_e32 v60, v60, v64
	v_fma_f16 v64, v43, s5, v62
	v_add_f16_e32 v23, v64, v23
	v_mul_f16_e32 v64, 0x3722, v44
	v_fma_f16 v62, v43, s5, -v62
	v_mul_f16_e32 v19, 0x35c8, v19
	v_add_f16_e32 v63, v68, v63
	v_fma_f16 v68, v45, s16, v64
	v_add_f16_e32 v22, v62, v22
	v_fma_f16 v62, v45, s15, v64
	v_fma_f16 v64, v43, s7, v19
	v_mul_f16_e32 v44, 0x3b76, v44
	v_fma_f16 v19, v43, s7, -v19
	v_add_f16_e32 v19, v19, v24
	v_fma_f16 v24, v45, s22, v44
	v_add_f16_e32 v15, v24, v15
	v_mul_f16_e32 v24, 0xbb29, v20
	v_fma_f16 v43, v26, s5, v24
	v_add_f16_e32 v28, v43, v28
	v_mul_f16_e32 v43, 0x3722, v46
	v_fma_f16 v24, v26, s5, -v24
	v_add_f16_e32 v24, v24, v27
	v_fma_f16 v27, v47, s16, v43
	v_add_f16_e32 v27, v27, v29
	v_mul_f16_e32 v29, 0xba62, v20
	v_add_f16_e32 v30, v64, v30
	v_fma_f16 v64, v45, s24, v44
	v_fma_f16 v44, v47, s15, v43
	v_fma_f16 v43, v26, s11, v29
	v_add_f16_e32 v34, v43, v34
	v_mul_f16_e32 v43, 0xb8d2, v46
	v_fma_f16 v29, v26, s11, -v29
	v_add_f16_e32 v29, v29, v31
	v_fma_f16 v31, v47, s21, v43
	v_add_f16_e32 v31, v31, v33
	v_mul_f16_e32 v33, 0x31e1, v20
	v_add_f16_e32 v32, v44, v32
	v_fma_f16 v44, v47, s23, v43
	v_fma_f16 v43, v26, s25, v33
	v_add_f16_e32 v36, v43, v36
	v_mul_f16_e32 v43, 0xbbdd, v46
	v_fma_f16 v33, v26, s25, -v33
	v_fma_f16 v45, v47, s28, v43
	v_add_f16_e32 v33, v33, v35
	v_fma_f16 v35, v47, s29, v43
	v_mul_f16_e32 v43, 0x3bb2, v20
	v_add_f16_e32 v35, v35, v54
	v_fma_f16 v54, v26, s10, v43
	v_add_f16_e32 v38, v54, v38
	v_mul_f16_e32 v54, 0xb461, v46
	v_fma_f16 v43, v26, s10, -v43
	v_add_f16_e32 v44, v44, v55
	v_fma_f16 v55, v47, s14, v54
	v_add_f16_e32 v37, v43, v37
	v_fma_f16 v43, v47, s17, v54
	v_mul_f16_e32 v54, 0x3964, v20
	v_add_f16_e32 v43, v43, v56
	v_fma_f16 v56, v26, s6, v54
	v_add_f16_e32 v40, v56, v40
	v_mul_f16_e32 v56, 0x39e9, v46
	v_fma_f16 v54, v26, s6, -v54
	v_add_f16_e32 v45, v45, v57
	;; [unrolled: 10-line block ×3, first 2 shown]
	v_fma_f16 v59, v47, s22, v58
	v_add_f16_e32 v41, v56, v41
	v_fma_f16 v56, v47, s24, v58
	v_mul_f16_e32 v58, 0xbbf7, v20
	v_add_f16_e32 v56, v56, v60
	v_fma_f16 v60, v26, s4, v58
	v_add_f16_e32 v23, v60, v23
	v_mul_f16_e32 v60, 0x2de8, v46
	v_fma_f16 v58, v26, s4, -v58
	v_mul_f16_e32 v20, 0xb836, v20
	v_add_f16_e32 v57, v57, v61
	v_fma_f16 v61, v47, s12, v60
	v_add_f16_e32 v22, v58, v22
	v_fma_f16 v58, v47, s13, v60
	v_fma_f16 v60, v26, s18, v20
	v_mul_f16_e32 v46, 0xbacd, v46
	v_fma_f16 v20, v26, s18, -v20
	v_add_f16_e32 v19, v20, v19
	v_fma_f16 v20, v47, s26, v46
	v_add_f16_e32 v15, v20, v15
	v_mul_f16_e32 v20, 0xbbf7, v21
	v_fma_f16 v26, v25, s4, v20
	v_add_f16_e32 v26, v26, v28
	v_mul_f16_e32 v28, 0x2de8, v48
	v_fma_f16 v20, v25, s4, -v20
	v_add_f16_e32 v24, v20, v24
	v_fma_f16 v20, v49, s13, v28
	v_add_f16_e32 v27, v20, v27
	v_mul_f16_e32 v20, 0xb1e1, v21
	v_add_f16_e32 v30, v60, v30
	v_fma_f16 v60, v47, s27, v46
	v_fma_f16 v46, v49, s12, v28
	;; [unrolled: 1-line block ×3, first 2 shown]
	v_add_f16_e32 v28, v28, v34
	v_mul_f16_e32 v34, 0xbbdd, v48
	v_fma_f16 v20, v25, s25, -v20
	v_add_f16_e32 v29, v20, v29
	v_fma_f16 v20, v49, s28, v34
	v_add_f16_e32 v31, v20, v31
	v_mul_f16_e32 v20, 0x3bb2, v21
	v_add_f16_e32 v32, v46, v32
	v_fma_f16 v46, v49, s29, v34
	v_fma_f16 v34, v25, s10, v20
	v_add_f16_e32 v34, v34, v36
	v_mul_f16_e32 v36, 0xb461, v48
	v_fma_f16 v20, v25, s10, -v20
	v_add_f16_e32 v33, v20, v33
	v_fma_f16 v20, v49, s17, v36
	v_add_f16_e32 v35, v20, v35
	v_mul_f16_e32 v20, 0x35c8, v21
	v_add_f16_e32 v44, v46, v44
	v_fma_f16 v46, v49, s14, v36
	v_fma_f16 v36, v25, s7, v20
	v_add_f16_e32 v36, v36, v38
	v_mul_f16_e32 v38, 0x3b76, v48
	v_fma_f16 v20, v25, s7, -v20
	v_add_f16_e32 v37, v20, v37
	v_fma_f16 v20, v49, s22, v38
	v_add_f16_e32 v45, v46, v45
	v_fma_f16 v46, v49, s24, v38
	v_add_f16_e32 v38, v20, v43
	v_mul_f16_e32 v20, 0xbb29, v21
	v_fma_f16 v43, v25, s5, v20
	v_add_f16_e32 v40, v43, v40
	v_mul_f16_e32 v43, 0x3722, v48
	v_fma_f16 v20, v25, s5, -v20
	v_add_f16_e32 v39, v20, v39
	v_fma_f16 v20, v49, s16, v43
	v_fma_f16 v47, v49, s15, v43
	v_add_f16_e32 v43, v20, v54
	v_mul_f16_e32 v20, 0xb836, v21
	v_fma_f16 v54, v25, s18, v20
	v_add_f16_e32 v42, v54, v42
	v_mul_f16_e32 v54, 0xbacd, v48
	v_fma_f16 v20, v25, s18, -v20
	v_add_f16_e32 v41, v20, v41
	v_fma_f16 v20, v49, s26, v54
	v_add_f16_e32 v46, v46, v55
	v_fma_f16 v55, v49, s27, v54
	v_add_f16_e32 v54, v20, v56
	v_mul_f16_e32 v20, 0x3a62, v21
	v_fma_f16 v56, v25, s11, v20
	v_add_f16_e32 v62, v62, v66
	v_add_f16_e32 v59, v59, v63
	;; [unrolled: 1-line block ×3, first 2 shown]
	v_mul_f16_e32 v23, 0xb8d2, v48
	v_fma_f16 v20, v25, s11, -v20
	v_add_f16_e32 v58, v58, v62
	v_add_f16_e32 v55, v55, v59
	;; [unrolled: 1-line block ×3, first 2 shown]
	v_fma_f16 v20, v49, s23, v23
	v_add_f16_e32 v65, v68, v65
	v_add_f16_e32 v58, v20, v58
	v_mul_f16_e32 v20, 0x3964, v21
	v_add_f16_e32 v61, v61, v65
	v_add_f16_e32 v47, v47, v57
	v_fma_f16 v57, v49, s21, v23
	v_fma_f16 v21, v25, s6, v20
	v_add_f16_e32 v64, v64, v67
	v_add_f16_e32 v57, v57, v61
	;; [unrolled: 1-line block ×3, first 2 shown]
	v_mul_f16_e32 v21, 0x39e9, v48
	v_fma_f16 v20, v25, s6, -v20
	v_add_f16_e32 v60, v60, v64
	v_fma_f16 v22, v49, s20, v21
	v_add_f16_e32 v19, v20, v19
	v_fma_f16 v20, v49, s19, v21
	v_add_f16_e32 v48, v22, v60
	v_add_f16_e32 v60, v20, v15
	v_mul_f16_e32 v15, 0xbbb2, v53
	v_fma_f16 v20, v50, s10, v15
	v_mul_f16_e32 v22, 0xb461, v51
	v_fma_f16 v15, v50, s10, -v15
	v_add_f16_e32 v21, v15, v24
	v_fma_f16 v15, v52, s14, v22
	v_add_f16_e32 v49, v20, v26
	v_fma_f16 v20, v52, s17, v22
	v_add_f16_e32 v22, v15, v27
	v_mul_f16_e32 v15, 0x3836, v53
	v_fma_f16 v23, v50, s18, v15
	v_mul_f16_e32 v26, 0xbacd, v51
	v_fma_f16 v15, v50, s18, -v15
	v_add_f16_e32 v25, v15, v29
	v_fma_f16 v15, v52, s27, v26
	v_fma_f16 v24, v52, s26, v26
	v_add_f16_e32 v26, v15, v31
	v_mul_f16_e32 v15, 0x3964, v53
	v_fma_f16 v27, v50, s6, v15
	v_mul_f16_e32 v30, 0x39e9, v51
	v_fma_f16 v15, v50, s6, -v15
	v_add_f16_e32 v29, v15, v33
	v_fma_f16 v15, v52, s19, v30
	v_add_f16_e32 v23, v23, v28
	v_fma_f16 v28, v52, s20, v30
	v_add_f16_e32 v30, v15, v35
	v_mul_f16_e32 v15, 0xbb29, v53
	v_add_f16_e32 v27, v27, v34
	v_fma_f16 v31, v50, s5, v15
	v_mul_f16_e32 v34, 0x3722, v51
	v_fma_f16 v15, v50, s5, -v15
	v_add_f16_e32 v33, v15, v37
	v_fma_f16 v15, v52, s16, v34
	v_add_f16_e32 v20, v20, v32
	v_fma_f16 v32, v52, s15, v34
	v_add_f16_e32 v34, v15, v38
	v_mul_f16_e32 v15, 0xb1e1, v53
	v_fma_f16 v35, v50, s25, v15
	v_mul_f16_e32 v38, 0xbbdd, v51
	v_fma_f16 v15, v50, s25, -v15
	v_add_f16_e32 v37, v15, v39
	v_fma_f16 v15, v52, s28, v38
	v_add_f16_e32 v31, v31, v36
	v_fma_f16 v36, v52, s29, v38
	v_add_f16_e32 v38, v15, v43
	v_mul_f16_e32 v15, 0x3bf7, v53
	v_fma_f16 v39, v50, s4, v15
	v_add_f16_e32 v39, v39, v42
	v_mul_f16_e32 v42, 0x2de8, v51
	v_fma_f16 v15, v50, s4, -v15
	v_add_f16_e32 v41, v15, v41
	v_fma_f16 v15, v52, s12, v42
	v_add_f16_e32 v35, v35, v40
	v_fma_f16 v40, v52, s13, v42
	v_add_f16_e32 v42, v15, v54
	v_mul_f16_e32 v15, 0xb5c8, v53
	v_add_f16_e32 v32, v32, v46
	v_fma_f16 v43, v50, s7, v15
	v_mul_f16_e32 v46, 0x3b76, v51
	v_fma_f16 v15, v50, s7, -v15
	v_add_f16_e32 v28, v28, v45
	v_add_f16_e32 v45, v15, v59
	v_fma_f16 v15, v52, s24, v46
	v_add_f16_e32 v24, v24, v44
	v_fma_f16 v44, v52, s22, v46
	v_add_f16_e32 v46, v15, v58
	v_mul_f16_e32 v15, 0xba62, v53
	v_add_f16_e32 v36, v36, v47
	v_fma_f16 v47, v50, s11, v15
	v_mul_f16_e32 v51, 0xb8d2, v51
	v_fma_f16 v15, v50, s11, -v15
	v_fma_f16 v53, v52, s23, v51
	v_add_f16_e32 v15, v15, v19
	v_fma_f16 v19, v52, s21, v51
	v_sub_f16_sdwa v51, v6, v9 dst_sel:DWORD dst_unused:UNUSED_PAD src0_sel:WORD_1 src1_sel:WORD_1
	v_add_f16_e32 v50, v9, v6
	v_mul_f16_e32 v52, 0xba62, v51
	v_add_f16_e32 v48, v53, v48
	v_fma_f16 v53, v50, s11, v52
	v_add_f16_e32 v49, v53, v49
	v_add_f16_sdwa v53, v9, v6 dst_sel:DWORD dst_unused:UNUSED_PAD src0_sel:WORD_1 src1_sel:WORD_1
	v_sub_f16_e32 v9, v6, v9
	v_mul_f16_e32 v6, 0xb8d2, v53
	v_fma_f16 v54, v9, s23, v6
	v_fma_f16 v6, v9, s21, v6
	v_fma_f16 v52, v50, s11, -v52
	v_add_f16_e32 v22, v6, v22
	v_mul_f16_e32 v6, 0x3bb2, v51
	v_add_f16_e32 v21, v52, v21
	v_fma_f16 v52, v50, s10, v6
	v_add_f16_e32 v23, v52, v23
	v_mul_f16_e32 v52, 0xb461, v53
	v_fma_f16 v6, v50, s10, -v6
	v_add_f16_e32 v25, v6, v25
	v_fma_f16 v6, v9, s17, v52
	v_add_f16_e32 v26, v6, v26
	v_mul_f16_e32 v6, 0xb5c8, v51
	v_add_f16_e32 v20, v54, v20
	v_fma_f16 v54, v9, s14, v52
	v_fma_f16 v52, v50, s7, v6
	v_add_f16_e32 v27, v52, v27
	v_mul_f16_e32 v52, 0x3b76, v53
	v_fma_f16 v6, v50, s7, -v6
	v_add_f16_e32 v29, v6, v29
	v_fma_f16 v6, v9, s24, v52
	v_add_f16_e32 v30, v6, v30
	v_mul_f16_e32 v6, 0xb836, v51
	v_add_f16_e32 v24, v54, v24
	v_fma_f16 v54, v9, s22, v52
	;; [unrolled: 10-line block ×4, first 2 shown]
	v_fma_f16 v52, v50, s6, v6
	v_add_f16_e32 v39, v52, v39
	v_mul_f16_e32 v52, 0x39e9, v53
	v_fma_f16 v6, v50, s6, -v6
	v_add_f16_e32 v41, v6, v41
	v_fma_f16 v6, v9, s20, v52
	v_add_f16_e32 v42, v6, v42
	v_mul_f16_e32 v6, 0xb1e1, v51
	v_add_f16_e32 v43, v43, v56
	v_add_f16_e32 v36, v54, v36
	v_fma_f16 v54, v9, s19, v52
	v_fma_f16 v52, v50, s25, v6
	v_add_f16_e32 v43, v52, v43
	v_mul_f16_e32 v52, 0xbbdd, v53
	v_fma_f16 v6, v50, s25, -v6
	v_add_f16_e32 v45, v6, v45
	v_fma_f16 v6, v9, s28, v52
	v_add_f16_e32 v46, v6, v46
	v_mul_f16_e32 v6, 0x3b29, v51
	v_add_f16_e32 v47, v47, v61
	v_fma_f16 v51, v50, s5, v6
	v_add_f16_e32 v40, v40, v55
	v_add_f16_e32 v47, v51, v47
	v_mul_f16_e32 v51, 0x3722, v53
	v_add_f16_e32 v19, v19, v60
	v_add_f16_e32 v40, v54, v40
	v_fma_f16 v54, v9, s29, v52
	v_fma_f16 v52, v9, s16, v51
	v_fma_f16 v50, v50, s5, -v6
	v_fma_f16 v9, v9, s15, v51
	v_add_f16_e32 v15, v50, v15
	v_add_f16_e32 v9, v9, v19
	;; [unrolled: 1-line block ×3, first 2 shown]
	v_add_f16_sdwa v50, v8, v7 dst_sel:DWORD dst_unused:UNUSED_PAD src0_sel:WORD_1 src1_sel:WORD_1
	v_sub_f16_e32 v51, v7, v8
	v_sub_f16_sdwa v7, v7, v8 dst_sel:DWORD dst_unused:UNUSED_PAD src0_sel:WORD_1 src1_sel:WORD_1
	v_mul_f16_e32 v8, 0xb836, v7
	v_add_f16_e32 v48, v52, v48
	v_fma_f16 v52, v19, s18, v8
	v_add_f16_e32 v49, v52, v49
	v_mul_f16_e32 v52, 0xbacd, v50
	v_fma_f16 v8, v19, s18, -v8
	v_add_f16_e32 v8, v8, v21
	v_fma_f16 v21, v51, s26, v52
	v_add_f16_e32 v21, v21, v22
	v_mul_f16_e32 v22, 0x3b29, v7
	v_fma_f16 v53, v51, s27, v52
	v_fma_f16 v52, v19, s5, v22
	v_add_f16_e32 v23, v52, v23
	v_mul_f16_e32 v52, 0x3722, v50
	v_fma_f16 v22, v19, s5, -v22
	v_add_f16_e32 v22, v22, v25
	v_fma_f16 v25, v51, s15, v52
	v_add_f16_e32 v25, v25, v26
	v_mul_f16_e32 v26, 0xbbf7, v7
	v_add_f16_e32 v20, v53, v20
	v_fma_f16 v53, v51, s16, v52
	v_fma_f16 v52, v19, s4, v26
	v_add_f16_e32 v27, v52, v27
	v_mul_f16_e32 v52, 0x2de8, v50
	v_fma_f16 v26, v19, s4, -v26
	v_add_f16_e32 v26, v26, v29
	v_fma_f16 v29, v51, s13, v52
	v_add_f16_e32 v29, v29, v30
	v_mul_f16_e32 v30, 0x3a62, v7
	v_add_f16_e32 v24, v53, v24
	;; [unrolled: 10-line block ×5, first 2 shown]
	v_fma_f16 v53, v51, s29, v52
	v_fma_f16 v52, v19, s6, v42
	v_add_f16_e32 v43, v52, v43
	v_mul_f16_e32 v52, 0x39e9, v50
	v_fma_f16 v42, v19, s6, -v42
	v_add_f16_e32 v42, v42, v45
	v_fma_f16 v45, v51, s19, v52
	v_mul_f16_e32 v7, 0xbbb2, v7
	v_add_f16_e32 v45, v45, v46
	v_fma_f16 v46, v19, s10, v7
	v_add_f16_e32 v44, v44, v57
	v_add_f16_e32 v46, v46, v47
	v_mul_f16_e32 v47, 0xb461, v50
	v_add_f16_e32 v44, v54, v44
	v_add_f16_e32 v40, v53, v40
	v_fma_f16 v53, v51, s20, v52
	v_fma_f16 v50, v51, s17, v47
	v_fma_f16 v7, v19, s10, -v7
	v_sub_f16_sdwa v54, v4, v5 dst_sel:DWORD dst_unused:UNUSED_PAD src0_sel:WORD_1 src1_sel:WORD_1
	v_add_f16_e32 v44, v53, v44
	v_add_f16_e32 v48, v50, v48
	;; [unrolled: 1-line block ×3, first 2 shown]
	v_fma_f16 v7, v51, s14, v47
	v_add_f16_e32 v51, v5, v4
	v_add_f16_sdwa v52, v5, v4 dst_sel:DWORD dst_unused:UNUSED_PAD src0_sel:WORD_1 src1_sel:WORD_1
	v_sub_f16_e32 v53, v4, v5
	v_mul_f16_e32 v4, 0xb1e1, v54
	v_fma_f16 v5, v51, s25, v4
	v_add_f16_e32 v49, v5, v49
	v_mul_f16_e32 v5, 0xbbdd, v52
	v_add_f16_e32 v47, v7, v9
	v_fma_f16 v7, v53, s29, v5
	v_add_f16_e32 v55, v7, v20
	v_fma_f16 v4, v51, s25, -v4
	v_mul_f16_e32 v7, 0x35c8, v54
	v_add_f16_e32 v4, v4, v8
	v_fma_f16 v8, v51, s7, v7
	v_add_f16_e32 v56, v8, v23
	v_mul_f16_e32 v8, 0x3b76, v52
	v_fma_f16 v9, v53, s24, v8
	v_add_f16_e32 v57, v9, v24
	v_mul_f16_e32 v9, 0xb836, v54
	v_fma_f16 v15, v51, s18, v9
	v_add_f16_e32 v58, v15, v27
	v_mul_f16_e32 v15, 0xbacd, v52
	v_fma_f16 v19, v53, s27, v15
	v_add_f16_e32 v59, v19, v28
	v_mul_f16_e32 v19, 0x3964, v54
	v_fma_f16 v20, v51, s6, v19
	v_fma_f16 v5, v53, s28, v5
	v_add_f16_e32 v31, v20, v31
	v_mul_f16_e32 v20, 0x39e9, v52
	v_add_f16_e32 v5, v5, v21
	v_fma_f16 v21, v53, s20, v20
	v_fma_f16 v7, v51, s7, -v7
	v_add_f16_e32 v32, v21, v32
	v_mul_f16_e32 v21, 0xba62, v54
	v_add_f16_e32 v7, v7, v22
	v_fma_f16 v20, v53, s19, v20
	v_fma_f16 v22, v51, s11, v21
	v_add_f16_e32 v20, v20, v33
	v_add_f16_e32 v33, v22, v35
	v_mul_f16_e32 v22, 0xb8d2, v52
	v_fma_f16 v23, v53, s23, v22
	v_add_f16_e32 v35, v23, v36
	v_mul_f16_e32 v23, 0x3b29, v54
	v_fma_f16 v21, v51, s11, -v21
	v_fma_f16 v24, v51, s5, v23
	v_fma_f16 v8, v53, s22, v8
	v_add_f16_e32 v21, v21, v34
	v_add_f16_e32 v34, v24, v39
	v_mul_f16_e32 v24, 0x3722, v52
	v_add_f16_e32 v8, v8, v25
	v_fma_f16 v25, v53, s16, v24
	v_fma_f16 v9, v51, s18, -v9
	v_add_f16_e32 v36, v25, v40
	v_mul_f16_e32 v25, 0xbbb2, v54
	s_movk_i32 s30, 0x44
	v_add_f16_e32 v9, v9, v26
	v_fma_f16 v22, v53, s21, v22
	v_fma_f16 v26, v51, s10, v25
	v_mad_u32_u24 v6, v0, s30, 0
	v_fma_f16 v15, v53, s26, v15
	v_fma_f16 v19, v51, s6, -v19
	v_add_f16_e32 v22, v22, v37
	v_add_f16_e32 v37, v26, v43
	v_mul_f16_e32 v26, 0xb461, v52
	v_pack_b32_f16 v39, v49, v55
	v_add_f16_e32 v15, v15, v29
	v_add_f16_e32 v19, v19, v30
	v_fma_f16 v23, v51, s5, -v23
	v_fma_f16 v27, v53, s17, v26
	v_mul_f16_e32 v29, 0x3bf7, v54
	v_mul_f16_e32 v30, 0x2de8, v52
	s_barrier
	ds_write2_b32 v6, v14, v39 offset1:1
	v_pack_b32_f16 v14, v58, v59
	v_pack_b32_f16 v39, v56, v57
	v_add_f16_e32 v23, v23, v38
	v_add_f16_e32 v38, v27, v44
	v_fma_f16 v27, v51, s4, v29
	v_fma_f16 v28, v53, s13, v30
	v_fma_f16 v29, v51, s4, -v29
	v_fma_f16 v30, v53, s12, v30
	ds_write2_b32 v6, v39, v14 offset0:2 offset1:3
	v_pack_b32_f16 v14, v33, v35
	v_pack_b32_f16 v31, v31, v32
	v_fma_f16 v24, v53, s15, v24
	v_fma_f16 v25, v51, s10, -v25
	v_fma_f16 v26, v53, s14, v26
	v_add_f16_e32 v27, v27, v46
	v_add_f16_e32 v28, v28, v48
	;; [unrolled: 1-line block ×4, first 2 shown]
	ds_write2_b32 v6, v31, v14 offset0:4 offset1:5
	v_pack_b32_f16 v14, v37, v38
	v_pack_b32_f16 v31, v34, v36
	;; [unrolled: 1-line block ×3, first 2 shown]
	s_movk_i32 s30, 0xf1
	v_add_f16_e32 v24, v24, v41
	v_add_f16_e32 v25, v25, v42
	;; [unrolled: 1-line block ×3, first 2 shown]
	ds_write2_b32 v6, v31, v14 offset0:6 offset1:7
	v_pack_b32_f16 v14, v29, v30
	v_pack_b32_f16 v27, v27, v28
	ds_write_b32 v6, v4 offset:64
	v_mul_lo_u16_sdwa v4, v0, s30 dst_sel:DWORD dst_unused:UNUSED_PAD src0_sel:BYTE_0 src1_sel:DWORD
	ds_write2_b32 v6, v27, v14 offset0:8 offset1:9
	v_pack_b32_f16 v14, v23, v24
	v_pack_b32_f16 v23, v25, v26
	v_lshrrev_b16_e32 v5, 12, v4
	ds_write2_b32 v6, v23, v14 offset0:10 offset1:11
	v_pack_b32_f16 v14, v19, v20
	v_pack_b32_f16 v19, v21, v22
	;; [unrolled: 1-line block ×4, first 2 shown]
	v_mul_lo_u16_e32 v4, 17, v5
	ds_write2_b32 v6, v19, v14 offset0:12 offset1:13
	ds_write2_b32 v6, v8, v7 offset0:14 offset1:15
	v_sub_u16_e32 v4, v0, v4
	v_mov_b32_e32 v6, 6
	v_lshlrev_b32_sdwa v14, v6, v4 dst_sel:DWORD dst_unused:UNUSED_PAD src0_sel:DWORD src1_sel:BYTE_0
	s_waitcnt lgkmcnt(0)
	s_barrier
	global_load_dwordx4 v[6:9], v14, s[8:9]
	global_load_dwordx4 v[37:40], v14, s[8:9] offset:16
	global_load_dwordx4 v[41:44], v14, s[8:9] offset:32
	;; [unrolled: 1-line block ×3, first 2 shown]
	ds_read2_b32 v[14:15], v1 offset0:152 offset1:254
	ds_read2_b32 v[49:50], v16 offset1:102
	ds_read2_b32 v[19:20], v10 offset0:76 offset1:178
	ds_read2_b32 v[21:22], v17 offset0:100 offset1:202
	;; [unrolled: 1-line block ×6, first 2 shown]
	s_waitcnt lgkmcnt(5)
	v_lshrrev_b32_e32 v12, 16, v19
	v_lshrrev_b32_e32 v11, 16, v50
	;; [unrolled: 1-line block ×4, first 2 shown]
	s_waitcnt lgkmcnt(4)
	v_lshrrev_b32_e32 v13, 16, v21
	v_lshrrev_b32_e32 v53, 16, v22
	s_waitcnt lgkmcnt(3)
	v_lshrrev_b32_e32 v54, 16, v25
	v_lshrrev_b32_e32 v55, 16, v26
	s_waitcnt lgkmcnt(2)
	v_lshrrev_b32_e32 v57, 16, v30
	s_waitcnt lgkmcnt(1)
	v_lshrrev_b32_e32 v59, 16, v34
	v_lshrrev_b32_e32 v56, 16, v29
	s_waitcnt lgkmcnt(0)
	v_lshrrev_b32_e32 v60, 16, v51
	v_mul_u32_u24_e32 v5, 0x484, v5
	s_waitcnt vmcnt(3)
	v_mul_f16_sdwa v24, v7, v12 dst_sel:DWORD dst_unused:UNUSED_PAD src0_sel:WORD_1 src1_sel:DWORD
	v_fma_f16 v36, v7, v19, v24
	v_mul_f16_sdwa v19, v7, v19 dst_sel:DWORD dst_unused:UNUSED_PAD src0_sel:WORD_1 src1_sel:DWORD
	v_fma_f16 v35, v7, v12, -v19
	v_mul_f16_sdwa v19, v6, v50 dst_sel:DWORD dst_unused:UNUSED_PAD src0_sel:WORD_1 src1_sel:DWORD
	v_fma_f16 v58, v6, v11, -v19
	v_mul_f16_sdwa v11, v6, v11 dst_sel:DWORD dst_unused:UNUSED_PAD src0_sel:WORD_1 src1_sel:DWORD
	v_fma_f16 v50, v6, v50, v11
	v_mul_f16_sdwa v6, v14, v9 dst_sel:DWORD dst_unused:UNUSED_PAD src0_sel:DWORD src1_sel:WORD_1
	v_fma_f16 v27, v10, v9, -v6
	v_mul_f16_sdwa v6, v10, v9 dst_sel:DWORD dst_unused:UNUSED_PAD src0_sel:DWORD src1_sel:WORD_1
	v_fma_f16 v28, v14, v9, v6
	s_waitcnt vmcnt(2)
	v_mul_f16_sdwa v6, v23, v37 dst_sel:DWORD dst_unused:UNUSED_PAD src0_sel:DWORD src1_sel:WORD_1
	v_lshrrev_b32_e32 v7, 16, v20
	v_fma_f16 v24, v15, v37, v6
	v_mul_f16_sdwa v6, v15, v37 dst_sel:DWORD dst_unused:UNUSED_PAD src0_sel:DWORD src1_sel:WORD_1
	v_mul_f16_sdwa v12, v8, v7 dst_sel:DWORD dst_unused:UNUSED_PAD src0_sel:WORD_1 src1_sel:DWORD
	v_fma_f16 v23, v23, v37, -v6
	v_mul_f16_sdwa v6, v13, v38 dst_sel:DWORD dst_unused:UNUSED_PAD src0_sel:DWORD src1_sel:WORD_1
	v_fma_f16 v31, v8, v20, v12
	v_mul_f16_sdwa v12, v8, v20 dst_sel:DWORD dst_unused:UNUSED_PAD src0_sel:WORD_1 src1_sel:DWORD
	v_fma_f16 v20, v21, v38, v6
	v_mul_f16_sdwa v6, v21, v38 dst_sel:DWORD dst_unused:UNUSED_PAD src0_sel:DWORD src1_sel:WORD_1
	v_fma_f16 v19, v13, v38, -v6
	v_mul_f16_sdwa v6, v53, v39 dst_sel:DWORD dst_unused:UNUSED_PAD src0_sel:DWORD src1_sel:WORD_1
	v_fma_f16 v32, v8, v7, -v12
	v_lshrrev_b32_e32 v14, 16, v33
	v_fma_f16 v10, v22, v39, v6
	v_mul_f16_sdwa v6, v22, v39 dst_sel:DWORD dst_unused:UNUSED_PAD src0_sel:DWORD src1_sel:WORD_1
	v_mul_f16_sdwa v7, v54, v40 dst_sel:DWORD dst_unused:UNUSED_PAD src0_sel:DWORD src1_sel:WORD_1
	v_fma_f16 v11, v53, v39, -v6
	v_mul_f16_sdwa v6, v25, v40 dst_sel:DWORD dst_unused:UNUSED_PAD src0_sel:DWORD src1_sel:WORD_1
	v_fma_f16 v7, v25, v40, v7
	s_waitcnt vmcnt(1)
	v_mul_f16_sdwa v8, v55, v41 dst_sel:DWORD dst_unused:UNUSED_PAD src0_sel:DWORD src1_sel:WORD_1
	v_mul_f16_sdwa v25, v14, v44 dst_sel:DWORD dst_unused:UNUSED_PAD src0_sel:DWORD src1_sel:WORD_1
	v_fma_f16 v8, v26, v41, v8
	v_mul_f16_sdwa v9, v26, v41 dst_sel:DWORD dst_unused:UNUSED_PAD src0_sel:DWORD src1_sel:WORD_1
	v_fma_f16 v26, v33, v44, v25
	v_mul_f16_sdwa v25, v33, v44 dst_sel:DWORD dst_unused:UNUSED_PAD src0_sel:DWORD src1_sel:WORD_1
	ds_read_b32 v15, v16 offset:6528
	v_mul_f16_sdwa v21, v57, v43 dst_sel:DWORD dst_unused:UNUSED_PAD src0_sel:DWORD src1_sel:WORD_1
	v_fma_f16 v25, v14, v44, -v25
	s_waitcnt vmcnt(0)
	v_mul_f16_sdwa v14, v59, v45 dst_sel:DWORD dst_unused:UNUSED_PAD src0_sel:DWORD src1_sel:WORD_1
	v_mul_f16_sdwa v12, v56, v42 dst_sel:DWORD dst_unused:UNUSED_PAD src0_sel:DWORD src1_sel:WORD_1
	v_fma_f16 v22, v30, v43, v21
	v_mul_f16_sdwa v21, v30, v43 dst_sel:DWORD dst_unused:UNUSED_PAD src0_sel:DWORD src1_sel:WORD_1
	v_fma_f16 v30, v34, v45, v14
	;; [unrolled: 2-line block ×3, first 2 shown]
	v_mul_f16_sdwa v13, v29, v42 dst_sel:DWORD dst_unused:UNUSED_PAD src0_sel:DWORD src1_sel:WORD_1
	v_fma_f16 v29, v59, v45, -v14
	v_mul_f16_sdwa v14, v60, v46 dst_sel:DWORD dst_unused:UNUSED_PAD src0_sel:DWORD src1_sel:WORD_1
	v_lshrrev_b32_e32 v37, 16, v52
	v_fma_f16 v34, v51, v46, v14
	v_mul_f16_sdwa v14, v51, v46 dst_sel:DWORD dst_unused:UNUSED_PAD src0_sel:DWORD src1_sel:WORD_1
	v_fma_f16 v33, v60, v46, -v14
	v_mul_f16_sdwa v14, v37, v47 dst_sel:DWORD dst_unused:UNUSED_PAD src0_sel:DWORD src1_sel:WORD_1
	s_waitcnt lgkmcnt(0)
	v_lshrrev_b32_e32 v38, 16, v15
	v_fma_f16 v39, v52, v47, v14
	v_mul_f16_sdwa v14, v52, v47 dst_sel:DWORD dst_unused:UNUSED_PAD src0_sel:DWORD src1_sel:WORD_1
	v_fma_f16 v37, v37, v47, -v14
	v_mul_f16_sdwa v14, v38, v48 dst_sel:DWORD dst_unused:UNUSED_PAD src0_sel:DWORD src1_sel:WORD_1
	v_fma_f16 v14, v15, v48, v14
	v_mul_f16_sdwa v15, v15, v48 dst_sel:DWORD dst_unused:UNUSED_PAD src0_sel:DWORD src1_sel:WORD_1
	v_fma_f16 v15, v38, v48, -v15
	v_fma_f16 v6, v54, v40, -v6
	v_sub_f16_e32 v40, v58, v15
	v_fma_f16 v9, v55, v41, -v9
	v_fma_f16 v21, v57, v43, -v21
	v_add_f16_e32 v38, v50, v14
	v_mul_f16_e32 v41, 0xb5c8, v40
	v_mul_f16_e32 v43, 0xb964, v40
	;; [unrolled: 1-line block ×8, first 2 shown]
	v_fma_f16 v13, v56, v42, -v13
	v_fma_f16 v42, v38, s7, v41
	v_fma_f16 v41, v38, s7, -v41
	v_fma_f16 v44, v38, s6, v43
	;; [unrolled: 2-line block ×8, first 2 shown]
	v_fma_f16 v38, v38, s25, -v40
	v_add_f16_e32 v40, v58, v15
	v_sub_f16_e32 v59, v50, v14
	v_mul_f16_e32 v60, 0x3b76, v40
	v_mul_f16_e32 v62, 0x39e9, v40
	;; [unrolled: 1-line block ×8, first 2 shown]
	v_fma_f16 v61, v59, s22, v60
	v_fma_f16 v60, v59, s24, v60
	;; [unrolled: 1-line block ×16, first 2 shown]
	v_add_f16_e32 v50, v50, v49
	v_add_f16_sdwa v58, v58, v49 dst_sel:DWORD dst_unused:UNUSED_PAD src0_sel:DWORD src1_sel:WORD_1
	v_add_f16_e32 v42, v42, v49
	v_add_f16_sdwa v59, v61, v49 dst_sel:DWORD dst_unused:UNUSED_PAD src0_sel:DWORD src1_sel:WORD_1
	;; [unrolled: 2-line block ×17, first 2 shown]
	v_add_f16_e32 v49, v50, v36
	v_add_f16_e32 v49, v49, v31
	;; [unrolled: 1-line block ×31, first 2 shown]
	v_sub_f16_e32 v36, v36, v39
	v_add_f16_e32 v39, v35, v37
	v_sub_f16_e32 v35, v35, v37
	v_mul_f16_e32 v37, 0xb964, v35
	v_fma_f16 v50, v49, s6, v37
	v_add_f16_e32 v42, v50, v42
	v_mul_f16_e32 v50, 0x39e9, v39
	v_fma_f16 v37, v49, s6, -v37
	v_fma_f16 v58, v36, s19, v50
	v_add_f16_e32 v37, v37, v41
	v_fma_f16 v41, v36, s20, v50
	v_mul_f16_e32 v50, 0xbbf7, v35
	v_add_f16_e32 v58, v58, v59
	v_fma_f16 v59, v49, s4, v50
	v_add_f16_e32 v44, v59, v44
	v_mul_f16_e32 v59, 0x2de8, v39
	v_fma_f16 v50, v49, s4, -v50
	v_add_f16_e32 v41, v41, v60
	v_fma_f16 v60, v36, s12, v59
	v_add_f16_e32 v43, v50, v43
	v_fma_f16 v50, v36, s13, v59
	v_mul_f16_e32 v59, 0xba62, v35
	v_add_f16_e32 v60, v60, v61
	v_fma_f16 v61, v49, s11, v59
	v_add_f16_e32 v46, v61, v46
	v_mul_f16_e32 v61, 0xb8d2, v39
	v_fma_f16 v59, v49, s11, -v59
	v_add_f16_e32 v50, v50, v62
	v_fma_f16 v62, v36, s23, v61
	v_add_f16_e32 v45, v59, v45
	v_fma_f16 v59, v36, s21, v61
	v_mul_f16_e32 v61, 0xb1e1, v35
	v_add_f16_e32 v62, v62, v63
	v_fma_f16 v63, v49, s25, v61
	v_add_f16_e32 v48, v63, v48
	v_mul_f16_e32 v63, 0xbbdd, v39
	v_fma_f16 v61, v49, s25, -v61
	v_add_f16_e32 v59, v59, v64
	v_fma_f16 v64, v36, s29, v63
	v_add_f16_e32 v47, v61, v47
	v_fma_f16 v61, v36, s28, v63
	v_mul_f16_e32 v63, 0x3836, v35
	v_add_f16_e32 v64, v64, v65
	v_fma_f16 v65, v49, s18, v63
	v_add_f16_e32 v52, v65, v52
	v_mul_f16_e32 v65, 0xbacd, v39
	v_fma_f16 v63, v49, s18, -v63
	v_add_f16_e32 v61, v61, v66
	v_fma_f16 v66, v36, s26, v65
	v_add_f16_e32 v51, v63, v51
	v_fma_f16 v63, v36, s27, v65
	v_mul_f16_e32 v65, 0x3bb2, v35
	v_add_f16_e32 v66, v66, v67
	v_fma_f16 v67, v49, s10, v65
	v_add_f16_e32 v54, v67, v54
	v_mul_f16_e32 v67, 0xb461, v39
	v_fma_f16 v65, v49, s10, -v65
	v_add_f16_e32 v63, v63, v68
	v_fma_f16 v68, v36, s14, v67
	v_add_f16_e32 v53, v65, v53
	v_fma_f16 v65, v36, s17, v67
	v_mul_f16_e32 v67, 0x3b29, v35
	v_add_f16_e32 v68, v68, v69
	v_fma_f16 v69, v49, s5, v67
	v_add_f16_e32 v56, v69, v56
	v_mul_f16_e32 v69, 0x3722, v39
	v_fma_f16 v67, v49, s5, -v67
	v_mul_f16_e32 v35, 0x35c8, v35
	v_add_f16_e32 v65, v65, v70
	v_fma_f16 v70, v36, s16, v69
	v_add_f16_e32 v55, v67, v55
	v_fma_f16 v67, v36, s15, v69
	v_fma_f16 v69, v49, s7, v35
	v_fma_f16 v35, v49, s7, -v35
	v_mul_f16_e32 v39, 0x3b76, v39
	v_add_f16_e32 v35, v35, v38
	v_add_f16_e32 v38, v31, v34
	v_sub_f16_e32 v31, v31, v34
	v_add_f16_e32 v34, v32, v33
	v_sub_f16_e32 v32, v32, v33
	v_add_f16_e32 v57, v69, v57
	v_fma_f16 v69, v36, s24, v39
	v_fma_f16 v36, v36, s22, v39
	v_mul_f16_e32 v33, 0xbb29, v32
	v_add_f16_e32 v36, v36, v40
	v_fma_f16 v39, v38, s5, v33
	v_mul_f16_e32 v40, 0x3722, v34
	v_fma_f16 v33, v38, s5, -v33
	v_add_f16_e32 v39, v39, v42
	v_fma_f16 v42, v31, s15, v40
	v_add_f16_e32 v33, v33, v37
	v_fma_f16 v37, v31, s16, v40
	v_mul_f16_e32 v40, 0xba62, v32
	v_add_f16_e32 v37, v37, v41
	v_fma_f16 v41, v38, s11, v40
	v_add_f16_e32 v41, v41, v44
	v_mul_f16_e32 v44, 0xb8d2, v34
	v_fma_f16 v40, v38, s11, -v40
	v_fma_f16 v49, v31, s23, v44
	v_add_f16_e32 v40, v40, v43
	v_fma_f16 v43, v31, s21, v44
	v_mul_f16_e32 v44, 0x31e1, v32
	v_add_f16_e32 v43, v43, v50
	v_fma_f16 v50, v38, s25, v44
	v_add_f16_e32 v46, v50, v46
	v_mul_f16_e32 v50, 0xbbdd, v34
	v_fma_f16 v44, v38, s25, -v44
	v_add_f16_e32 v42, v42, v58
	v_fma_f16 v58, v31, s28, v50
	v_add_f16_e32 v44, v44, v45
	v_fma_f16 v45, v31, s29, v50
	v_mul_f16_e32 v50, 0x3bb2, v32
	v_add_f16_e32 v45, v45, v59
	v_fma_f16 v59, v38, s10, v50
	v_add_f16_e32 v48, v59, v48
	v_mul_f16_e32 v59, 0xb461, v34
	v_fma_f16 v50, v38, s10, -v50
	v_add_f16_e32 v49, v49, v60
	;; [unrolled: 10-line block ×4, first 2 shown]
	v_fma_f16 v64, v31, s22, v63
	v_add_f16_e32 v53, v61, v53
	v_fma_f16 v61, v31, s24, v63
	v_mul_f16_e32 v63, 0xbbf7, v32
	v_add_f16_e32 v61, v61, v65
	v_fma_f16 v65, v38, s4, v63
	v_add_f16_e32 v56, v65, v56
	v_mul_f16_e32 v65, 0x2de8, v34
	v_fma_f16 v63, v38, s4, -v63
	v_mul_f16_e32 v32, 0xb836, v32
	v_add_f16_e32 v62, v62, v66
	v_fma_f16 v66, v31, s12, v65
	v_add_f16_e32 v55, v63, v55
	v_fma_f16 v63, v31, s13, v65
	v_fma_f16 v65, v38, s18, v32
	v_mul_f16_e32 v34, 0xbacd, v34
	v_add_f16_e32 v57, v65, v57
	v_fma_f16 v65, v31, s27, v34
	v_fma_f16 v31, v31, s26, v34
	v_add_f16_e32 v34, v28, v30
	v_sub_f16_e32 v28, v28, v30
	v_add_f16_e32 v30, v27, v29
	v_sub_f16_e32 v27, v27, v29
	v_fma_f16 v32, v38, s18, -v32
	v_mul_f16_e32 v29, 0xbbf7, v27
	v_add_f16_e32 v32, v32, v35
	v_add_f16_e32 v31, v31, v36
	v_fma_f16 v35, v34, s4, v29
	v_mul_f16_e32 v36, 0x2de8, v30
	v_fma_f16 v29, v34, s4, -v29
	v_fma_f16 v38, v28, s12, v36
	v_add_f16_e32 v29, v29, v33
	v_fma_f16 v33, v28, s13, v36
	v_mul_f16_e32 v36, 0xb1e1, v27
	v_add_f16_e32 v35, v35, v39
	v_add_f16_e32 v33, v33, v37
	v_fma_f16 v37, v34, s25, v36
	v_mul_f16_e32 v39, 0xbbdd, v30
	v_fma_f16 v36, v34, s25, -v36
	v_add_f16_e32 v37, v37, v41
	v_fma_f16 v41, v28, s29, v39
	v_add_f16_e32 v36, v36, v40
	v_fma_f16 v39, v28, s28, v39
	v_mul_f16_e32 v40, 0x3bb2, v27
	v_add_f16_e32 v38, v38, v42
	v_add_f16_e32 v39, v39, v43
	v_fma_f16 v42, v34, s10, v40
	v_mul_f16_e32 v43, 0xb461, v30
	v_fma_f16 v40, v34, s10, -v40
	v_add_f16_e32 v42, v42, v46
	v_fma_f16 v46, v28, s14, v43
	v_add_f16_e32 v40, v40, v44
	v_fma_f16 v43, v28, s17, v43
	v_mul_f16_e32 v44, 0x35c8, v27
	v_add_f16_e32 v43, v43, v45
	v_fma_f16 v45, v34, s7, v44
	v_add_f16_e32 v45, v45, v48
	v_mul_f16_e32 v48, 0x3b76, v30
	v_fma_f16 v44, v34, s7, -v44
	v_add_f16_e32 v41, v41, v49
	v_fma_f16 v49, v28, s24, v48
	v_add_f16_e32 v44, v44, v47
	v_fma_f16 v47, v28, s22, v48
	v_mul_f16_e32 v48, 0xbb29, v27
	v_add_f16_e32 v47, v47, v50
	v_fma_f16 v50, v34, s5, v48
	v_add_f16_e32 v50, v50, v52
	;; [unrolled: 10-line block ×4, first 2 shown]
	v_mul_f16_e32 v61, 0xb8d2, v30
	v_fma_f16 v59, v34, s11, -v59
	v_mul_f16_e32 v27, 0x3964, v27
	v_add_f16_e32 v58, v58, v62
	v_fma_f16 v62, v28, s21, v61
	v_add_f16_e32 v55, v59, v55
	v_fma_f16 v59, v28, s23, v61
	v_fma_f16 v61, v34, s6, v27
	v_mul_f16_e32 v30, 0x39e9, v30
	v_add_f16_e32 v57, v61, v57
	v_fma_f16 v61, v28, s20, v30
	v_fma_f16 v28, v28, s19, v30
	v_add_f16_e32 v30, v24, v26
	v_sub_f16_e32 v24, v24, v26
	v_add_f16_e32 v26, v23, v25
	v_sub_f16_e32 v23, v23, v25
	v_fma_f16 v27, v34, s6, -v27
	v_mul_f16_e32 v25, 0xbbb2, v23
	v_add_f16_e32 v27, v27, v32
	v_add_f16_e32 v28, v28, v31
	v_fma_f16 v31, v30, s10, v25
	v_mul_f16_e32 v32, 0xb461, v26
	v_fma_f16 v25, v30, s10, -v25
	v_fma_f16 v34, v24, s17, v32
	v_add_f16_e32 v25, v25, v29
	v_fma_f16 v29, v24, s14, v32
	v_mul_f16_e32 v32, 0x3836, v23
	v_add_f16_e32 v31, v31, v35
	v_add_f16_e32 v29, v29, v33
	v_fma_f16 v33, v30, s18, v32
	v_mul_f16_e32 v35, 0xbacd, v26
	v_fma_f16 v32, v30, s18, -v32
	v_add_f16_e32 v33, v33, v37
	v_fma_f16 v37, v24, s26, v35
	v_add_f16_e32 v32, v32, v36
	v_fma_f16 v35, v24, s27, v35
	v_mul_f16_e32 v36, 0x3964, v23
	v_add_f16_e32 v34, v34, v38
	v_add_f16_e32 v35, v35, v39
	v_fma_f16 v38, v30, s6, v36
	v_mul_f16_e32 v39, 0x39e9, v26
	v_fma_f16 v36, v30, s6, -v36
	v_add_f16_e32 v37, v37, v41
	;; [unrolled: 10-line block ×5, first 2 shown]
	v_fma_f16 v54, v24, s13, v51
	v_add_f16_e32 v48, v48, v52
	v_fma_f16 v51, v24, s12, v51
	v_mul_f16_e32 v52, 0xb5c8, v23
	v_add_f16_e32 v51, v51, v53
	v_fma_f16 v53, v30, s7, v52
	v_add_f16_e32 v53, v53, v56
	v_mul_f16_e32 v56, 0x3b76, v26
	v_fma_f16 v52, v30, s7, -v52
	v_mul_f16_e32 v23, 0xba62, v23
	v_add_f16_e32 v49, v49, v58
	v_fma_f16 v58, v24, s22, v56
	v_add_f16_e32 v52, v52, v55
	v_fma_f16 v55, v24, s24, v56
	v_fma_f16 v56, v30, s11, v23
	v_mul_f16_e32 v26, 0xb8d2, v26
	v_add_f16_e32 v56, v56, v57
	v_fma_f16 v57, v24, s23, v26
	v_fma_f16 v24, v24, s21, v26
	v_add_f16_e32 v26, v20, v22
	v_sub_f16_e32 v20, v20, v22
	v_add_f16_e32 v22, v19, v21
	v_sub_f16_e32 v19, v19, v21
	v_fma_f16 v23, v30, s11, -v23
	v_mul_f16_e32 v21, 0xba62, v19
	v_add_f16_e32 v23, v23, v27
	v_add_f16_e32 v24, v24, v28
	v_fma_f16 v27, v26, s11, v21
	v_mul_f16_e32 v28, 0xb8d2, v22
	v_fma_f16 v21, v26, s11, -v21
	v_fma_f16 v30, v20, s23, v28
	v_add_f16_e32 v21, v21, v25
	v_fma_f16 v25, v20, s21, v28
	v_mul_f16_e32 v28, 0x3bb2, v19
	v_add_f16_e32 v25, v25, v29
	v_fma_f16 v29, v26, s10, v28
	v_fma_f16 v28, v26, s10, -v28
	v_add_f16_e32 v28, v28, v32
	v_mul_f16_e32 v32, 0xb5c8, v19
	v_add_f16_e32 v27, v27, v31
	v_add_f16_e32 v30, v30, v34
	v_mul_f16_e32 v31, 0xb461, v22
	v_fma_f16 v34, v26, s7, v32
	v_fma_f16 v32, v26, s7, -v32
	v_add_f16_e32 v29, v29, v33
	v_fma_f16 v33, v20, s14, v31
	v_fma_f16 v31, v20, s17, v31
	v_add_f16_e32 v32, v32, v36
	v_mul_f16_e32 v36, 0xb836, v19
	v_add_f16_e32 v31, v31, v35
	v_add_f16_e32 v34, v34, v38
	v_mul_f16_e32 v35, 0x3b76, v22
	v_fma_f16 v38, v26, s18, v36
	v_fma_f16 v36, v26, s18, -v36
	v_add_f16_e32 v33, v33, v37
	v_fma_f16 v37, v20, s22, v35
	v_fma_f16 v35, v20, s24, v35
	;; [unrolled: 10-line block ×4, first 2 shown]
	v_add_f16_e32 v44, v44, v48
	v_mul_f16_e32 v48, 0xb1e1, v19
	v_add_f16_e32 v64, v64, v68
	v_add_f16_e32 v43, v43, v47
	;; [unrolled: 1-line block ×3, first 2 shown]
	v_mul_f16_e32 v47, 0x39e9, v22
	v_fma_f16 v50, v26, s25, v48
	v_fma_f16 v48, v26, s25, -v48
	v_mul_f16_e32 v19, 0x3b29, v19
	v_add_f16_e32 v60, v60, v64
	v_add_f16_e32 v45, v45, v49
	v_fma_f16 v49, v20, s19, v47
	v_fma_f16 v47, v20, s20, v47
	v_add_f16_e32 v48, v48, v52
	v_fma_f16 v52, v26, s5, v19
	v_fma_f16 v19, v26, s5, -v19
	v_add_f16_e32 v54, v54, v60
	v_add_f16_e32 v47, v47, v51
	v_mul_f16_e32 v51, 0xbbdd, v22
	v_mul_f16_e32 v22, 0x3722, v22
	v_add_f16_e32 v19, v19, v23
	v_add_f16_e32 v23, v11, v13
	v_sub_f16_e32 v11, v11, v13
	v_add_f16_e32 v49, v49, v54
	v_add_f16_e32 v50, v50, v53
	v_fma_f16 v53, v20, s29, v51
	v_fma_f16 v51, v20, s28, v51
	;; [unrolled: 1-line block ×4, first 2 shown]
	v_add_f16_e32 v22, v10, v12
	v_sub_f16_e32 v10, v10, v12
	v_mul_f16_e32 v12, 0xb836, v11
	v_add_f16_e32 v20, v20, v24
	v_fma_f16 v13, v22, s18, v12
	v_mul_f16_e32 v24, 0xbacd, v23
	v_fma_f16 v12, v22, s18, -v12
	v_fma_f16 v26, v10, s27, v24
	v_add_f16_e32 v12, v12, v21
	v_fma_f16 v21, v10, s26, v24
	v_mul_f16_e32 v24, 0x3b29, v11
	v_add_f16_e32 v13, v13, v27
	v_add_f16_e32 v21, v21, v25
	v_fma_f16 v25, v22, s5, v24
	v_mul_f16_e32 v27, 0x3722, v23
	v_fma_f16 v24, v22, s5, -v24
	v_add_f16_e32 v25, v25, v29
	v_fma_f16 v29, v10, s16, v27
	v_add_f16_e32 v24, v24, v28
	v_fma_f16 v27, v10, s15, v27
	v_mul_f16_e32 v28, 0xbbf7, v11
	v_add_f16_e32 v26, v26, v30
	v_add_f16_e32 v27, v27, v31
	v_fma_f16 v30, v22, s4, v28
	v_mul_f16_e32 v31, 0x2de8, v23
	v_fma_f16 v28, v22, s4, -v28
	v_add_f16_e32 v29, v29, v33
	;; [unrolled: 10-line block ×4, first 2 shown]
	v_add_f16_e32 v69, v69, v73
	v_add_f16_e32 v37, v37, v41
	v_fma_f16 v41, v10, s22, v39
	v_add_f16_e32 v36, v36, v40
	v_fma_f16 v39, v10, s24, v39
	v_mul_f16_e32 v40, 0xb1e1, v11
	v_add_f16_e32 v66, v66, v70
	v_add_f16_e32 v65, v65, v69
	v_add_f16_e32 v38, v38, v42
	v_add_f16_e32 v39, v39, v43
	v_fma_f16 v42, v22, s25, v40
	v_mul_f16_e32 v43, 0xbbdd, v23
	v_fma_f16 v40, v22, s25, -v40
	v_add_f16_e32 v67, v67, v72
	v_add_f16_e32 v62, v62, v66
	;; [unrolled: 1-line block ×4, first 2 shown]
	v_fma_f16 v45, v10, s29, v43
	v_add_f16_e32 v40, v40, v44
	v_fma_f16 v43, v10, s28, v43
	v_mul_f16_e32 v44, 0x3964, v11
	v_add_f16_e32 v63, v63, v67
	v_add_f16_e32 v58, v58, v62
	;; [unrolled: 1-line block ×5, first 2 shown]
	v_fma_f16 v46, v22, s6, v44
	v_mul_f16_e32 v47, 0x39e9, v23
	v_mul_f16_e32 v23, 0xb461, v23
	v_add_f16_e32 v59, v59, v63
	v_add_f16_e32 v53, v53, v58
	;; [unrolled: 1-line block ×6, first 2 shown]
	v_fma_f16 v49, v10, s20, v47
	v_fma_f16 v50, v10, s17, v23
	v_sub_f16_e32 v56, v6, v9
	v_add_f16_e32 v55, v55, v59
	v_add_f16_e32 v49, v49, v53
	;; [unrolled: 1-line block ×5, first 2 shown]
	v_mul_f16_e32 v6, 0xb1e1, v56
	v_add_f16_e32 v51, v51, v55
	v_fma_f16 v44, v22, s6, -v44
	v_mul_f16_e32 v11, 0xbbb2, v11
	v_sub_f16_e32 v55, v7, v8
	v_fma_f16 v7, v53, s25, v6
	v_add_f16_e32 v44, v44, v48
	v_fma_f16 v47, v10, s19, v47
	v_fma_f16 v48, v22, s10, v11
	;; [unrolled: 1-line block ×3, first 2 shown]
	v_add_f16_e32 v57, v7, v13
	v_mul_f16_e32 v7, 0xbbdd, v54
	v_fma_f16 v6, v53, s25, -v6
	v_add_f16_e32 v48, v48, v52
	v_add_f16_e32 v52, v10, v20
	;; [unrolled: 1-line block ×3, first 2 shown]
	v_fma_f16 v6, v55, s28, v7
	v_add_f16_e32 v23, v6, v21
	v_mul_f16_e32 v6, 0x35c8, v56
	v_fma_f16 v8, v55, s29, v7
	v_fma_f16 v7, v53, s7, v6
	v_add_f16_e32 v59, v7, v25
	v_mul_f16_e32 v7, 0x3b76, v54
	v_fma_f16 v6, v53, s7, -v6
	v_add_f16_e32 v21, v6, v24
	v_fma_f16 v6, v55, s22, v7
	v_add_f16_e32 v25, v6, v27
	v_mul_f16_e32 v6, 0xb836, v56
	v_add_f16_e32 v58, v8, v26
	v_fma_f16 v8, v55, s24, v7
	v_fma_f16 v7, v53, s18, v6
	v_add_f16_e32 v61, v7, v30
	v_mul_f16_e32 v7, 0xbacd, v54
	v_fma_f16 v6, v53, s18, -v6
	v_add_f16_e32 v24, v6, v28
	v_fma_f16 v6, v55, s26, v7
	v_add_f16_e32 v27, v6, v31
	v_mul_f16_e32 v6, 0x3964, v56
	v_add_f16_e32 v60, v8, v29
	v_fma_f16 v8, v55, s27, v7
	v_fma_f16 v7, v53, s6, v6
	v_add_f16_e32 v34, v7, v34
	v_mul_f16_e32 v7, 0x39e9, v54
	v_fma_f16 v6, v53, s6, -v6
	v_add_f16_e32 v26, v6, v32
	v_fma_f16 v6, v55, s19, v7
	v_add_f16_e32 v28, v6, v35
	v_mul_f16_e32 v6, 0xba62, v56
	v_fma_f16 v11, v22, s10, -v11
	v_add_f16_e32 v33, v8, v33
	v_fma_f16 v8, v55, s20, v7
	v_fma_f16 v7, v53, s11, v6
	v_fma_f16 v6, v53, s11, -v6
	v_add_f16_e32 v47, v47, v51
	v_add_f16_e32 v51, v11, v19
	;; [unrolled: 1-line block ×3, first 2 shown]
	v_mul_f16_e32 v7, 0xb8d2, v54
	v_add_f16_e32 v19, v6, v36
	v_mov_b32_e32 v36, 2
	v_add_f16_e32 v37, v8, v37
	v_fma_f16 v8, v55, s23, v7
	v_fma_f16 v6, v55, s21, v7
	v_lshlrev_b32_sdwa v4, v36, v4 dst_sel:DWORD dst_unused:UNUSED_PAD src0_sel:DWORD src1_sel:BYTE_0
	v_add_f16_e32 v38, v8, v41
	v_add_f16_e32 v22, v6, v39
	v_mul_f16_e32 v6, 0x3b29, v56
	v_mul_f16_e32 v8, 0x3722, v54
	;; [unrolled: 1-line block ×4, first 2 shown]
	v_add3_u32 v4, 0, v5, v4
	v_pack_b32_f16 v5, v14, v15
	v_pack_b32_f16 v14, v57, v58
	v_fma_f16 v7, v53, s5, v6
	v_fma_f16 v9, v55, s16, v8
	;; [unrolled: 1-line block ×4, first 2 shown]
	v_mul_f16_e32 v31, 0x3bf7, v56
	v_mul_f16_e32 v32, 0x2de8, v54
	s_barrier
	ds_write2_b32 v4, v5, v14 offset1:17
	v_pack_b32_f16 v5, v59, v60
	v_pack_b32_f16 v14, v61, v33
	v_add_f16_e32 v7, v7, v42
	v_add_f16_e32 v9, v9, v45
	;; [unrolled: 1-line block ×4, first 2 shown]
	v_fma_f16 v29, v53, s4, v31
	v_fma_f16 v30, v55, s13, v32
	v_fma_f16 v31, v53, s4, -v31
	v_fma_f16 v32, v55, s12, v32
	ds_write2_b32 v4, v5, v14 offset0:34 offset1:51
	v_pack_b32_f16 v5, v34, v37
	v_pack_b32_f16 v14, v35, v38
	v_fma_f16 v6, v53, s5, -v6
	v_fma_f16 v8, v55, s15, v8
	v_fma_f16 v11, v53, s10, -v11
	v_fma_f16 v12, v55, s14, v12
	v_add_f16_e32 v29, v29, v48
	v_add_f16_e32 v30, v30, v50
	;; [unrolled: 1-line block ×4, first 2 shown]
	ds_write2_b32 v4, v5, v14 offset0:68 offset1:85
	v_pack_b32_f16 v5, v7, v9
	v_pack_b32_f16 v7, v10, v13
	v_add_f16_e32 v6, v6, v40
	v_add_f16_e32 v8, v8, v43
	v_add_f16_e32 v11, v11, v44
	v_add_f16_e32 v12, v12, v47
	ds_write2_b32 v4, v5, v7 offset0:102 offset1:119
	v_pack_b32_f16 v5, v29, v30
	v_pack_b32_f16 v7, v31, v32
	ds_write2_b32 v4, v5, v7 offset0:136 offset1:153
	v_pack_b32_f16 v5, v11, v12
	v_pack_b32_f16 v6, v6, v8
	;; [unrolled: 3-line block ×4, first 2 shown]
	ds_write2_b32 v4, v5, v6 offset0:238 offset1:255
	v_pack_b32_f16 v5, v20, v23
	ds_write_b32 v4, v5 offset:1088
	s_waitcnt lgkmcnt(0)
	s_barrier
	ds_read2_b32 v[4:5], v16 offset1:102
	ds_read2_b32 v[6:7], v1 offset0:33 offset1:135
	ds_read2_b32 v[8:9], v17 offset0:66 offset1:168
	;; [unrolled: 1-line block ×3, first 2 shown]
	v_add_u32_e32 v31, 0x1000, v16
	v_add_u32_e32 v32, 0x1600, v16
	ds_read2_b32 v[12:13], v31 offset0:132 offset1:234
	ds_read2_b32 v[14:15], v32 offset0:37 offset1:139
	s_movk_i32 s4, 0x55
	v_cmp_gt_u32_e32 vcc, s4, v0
                                        ; implicit-def: $vgpr30
                                        ; implicit-def: $vgpr29
	s_and_saveexec_b64 s[4:5], vcc
	s_cbranch_execz .LBB0_21
; %bb.20:
	ds_read_b32 v19, v16 offset:816
	ds_read_b32 v26, v16 offset:1972
	;; [unrolled: 1-line block ×6, first 2 shown]
	s_waitcnt lgkmcnt(5)
	v_lshrrev_b32_e32 v22, 16, v19
	s_waitcnt lgkmcnt(4)
	v_lshrrev_b32_e32 v28, 16, v26
	s_waitcnt lgkmcnt(3)
	v_lshrrev_b32_e32 v27, 16, v24
	s_waitcnt lgkmcnt(2)
	v_lshrrev_b32_e32 v25, 16, v21
	s_waitcnt lgkmcnt(1)
	v_lshrrev_b32_e32 v23, 16, v20
	s_waitcnt lgkmcnt(0)
	v_lshrrev_b32_e32 v30, 16, v29
.LBB0_21:
	s_or_b64 exec, exec, s[4:5]
	v_mul_u32_u24_e32 v33, 5, v0
	v_lshlrev_b32_e32 v41, 2, v33
	global_load_dwordx4 v[33:36], v41, s[8:9] offset:1088
	global_load_dword v42, v41, s[8:9] offset:1104
	global_load_dwordx4 v[37:40], v41, s[8:9] offset:3128
	global_load_dword v43, v41, s[8:9] offset:3144
	s_waitcnt lgkmcnt(0)
	v_lshrrev_b32_e32 v50, 16, v14
	v_lshrrev_b32_e32 v52, 16, v10
	v_lshrrev_b32_e32 v54, 16, v6
	v_lshrrev_b32_e32 v51, 16, v12
	v_lshrrev_b32_e32 v53, 16, v8
	v_lshrrev_b32_e32 v45, 16, v13
	v_lshrrev_b32_e32 v47, 16, v11
	v_lshrrev_b32_e32 v48, 16, v9
	v_lshrrev_b32_e32 v49, 16, v7
	v_lshrrev_b32_e32 v41, 16, v4
	v_lshrrev_b32_e32 v46, 16, v15
	s_movk_i32 s6, 0x3aee
	s_mov_b32 s7, 0xbaee
	v_lshrrev_b32_e32 v44, 16, v5
	s_waitcnt vmcnt(0)
	s_barrier
	v_mul_f16_sdwa v55, v33, v54 dst_sel:DWORD dst_unused:UNUSED_PAD src0_sel:WORD_1 src1_sel:DWORD
	v_mul_f16_sdwa v56, v33, v6 dst_sel:DWORD dst_unused:UNUSED_PAD src0_sel:WORD_1 src1_sel:DWORD
	;; [unrolled: 1-line block ×10, first 2 shown]
	v_fma_f16 v6, v33, v6, v55
	v_fma_f16 v33, v33, v54, -v56
	v_fma_f16 v10, v35, v10, v59
	v_fma_f16 v35, v35, v52, -v60
	;; [unrolled: 2-line block ×3, first 2 shown]
	v_mul_f16_sdwa v65, v37, v49 dst_sel:DWORD dst_unused:UNUSED_PAD src0_sel:WORD_1 src1_sel:DWORD
	v_mul_f16_sdwa v66, v37, v7 dst_sel:DWORD dst_unused:UNUSED_PAD src0_sel:WORD_1 src1_sel:DWORD
	;; [unrolled: 1-line block ×6, first 2 shown]
	v_mul_f16_sdwa v71, v45, v40 dst_sel:DWORD dst_unused:UNUSED_PAD src0_sel:DWORD src1_sel:WORD_1
	v_mul_f16_sdwa v72, v13, v40 dst_sel:DWORD dst_unused:UNUSED_PAD src0_sel:DWORD src1_sel:WORD_1
	v_fma_f16 v8, v34, v8, v57
	v_fma_f16 v34, v34, v53, -v58
	v_fma_f16 v12, v36, v12, v61
	v_fma_f16 v36, v36, v51, -v62
	v_sub_f16_e32 v51, v35, v42
	v_add_f16_e32 v52, v33, v35
	v_add_f16_e32 v35, v35, v42
	v_mul_f16_sdwa v73, v46, v43 dst_sel:DWORD dst_unused:UNUSED_PAD src0_sel:DWORD src1_sel:WORD_1
	v_mul_f16_sdwa v74, v15, v43 dst_sel:DWORD dst_unused:UNUSED_PAD src0_sel:DWORD src1_sel:WORD_1
	v_fma_f16 v7, v37, v7, v65
	v_fma_f16 v37, v37, v49, -v66
	v_fma_f16 v9, v38, v9, v67
	v_fma_f16 v38, v38, v48, -v68
	v_fma_f16 v11, v39, v11, v69
	v_fma_f16 v39, v39, v47, -v70
	v_fma_f16 v13, v13, v40, v71
	v_fma_f16 v40, v45, v40, -v72
	v_add_f16_e32 v45, v4, v8
	v_sub_f16_e32 v47, v34, v36
	v_add_f16_e32 v48, v41, v34
	v_add_f16_e32 v34, v34, v36
	;; [unrolled: 1-line block ×4, first 2 shown]
	v_sub_f16_e32 v10, v10, v14
	v_fma_f16 v33, v35, -0.5, v33
	v_fma_f16 v15, v15, v43, v73
	v_fma_f16 v43, v46, v43, -v74
	v_add_f16_e32 v46, v8, v12
	v_sub_f16_e32 v8, v8, v12
	v_add_f16_e32 v12, v45, v12
	v_fma_f16 v34, v34, -0.5, v41
	v_fma_f16 v6, v50, -0.5, v6
	v_fma_f16 v45, v10, s6, v33
	v_fma_f16 v4, v46, -0.5, v4
	v_add_f16_e32 v41, v52, v42
	v_fma_f16 v42, v8, s6, v34
	v_fma_f16 v8, v8, s7, v34
	v_fma_f16 v34, v51, s7, v6
	v_fma_f16 v10, v10, s7, v33
	v_mul_f16_e32 v46, 0xbaee, v45
	v_add_f16_e32 v36, v48, v36
	v_add_f16_e32 v14, v49, v14
	v_fma_f16 v35, v47, s7, v4
	v_fma_f16 v6, v51, s6, v6
	v_fma_f16 v46, v34, 0.5, v46
	v_mul_f16_e32 v48, 0xbaee, v10
	v_mul_f16_e32 v10, -0.5, v10
	v_fma_f16 v4, v47, s6, v4
	v_add_f16_e32 v33, v12, v14
	v_add_f16_e32 v47, v35, v46
	v_fma_f16 v48, v6, -0.5, v48
	v_add_f16_e32 v50, v36, v41
	v_fma_f16 v6, v6, s6, v10
	v_sub_f16_e32 v12, v12, v14
	v_sub_f16_e32 v14, v35, v46
	;; [unrolled: 1-line block ×3, first 2 shown]
	v_add_f16_e32 v36, v9, v13
	v_add_f16_e32 v10, v8, v6
	v_sub_f16_e32 v6, v8, v6
	v_add_f16_e32 v8, v5, v9
	v_fma_f16 v5, v36, -0.5, v5
	v_sub_f16_e32 v36, v38, v40
	v_fma_f16 v41, v36, s7, v5
	v_fma_f16 v5, v36, s6, v5
	v_add_f16_e32 v36, v44, v38
	v_add_f16_e32 v38, v38, v40
	v_mul_f16_e32 v45, 0.5, v45
	v_add_f16_e32 v36, v36, v40
	v_fma_f16 v38, v38, -0.5, v44
	v_sub_f16_e32 v9, v9, v13
	v_add_f16_e32 v40, v11, v15
	v_fma_f16 v34, v34, s6, v45
	v_add_f16_e32 v8, v8, v13
	v_fma_f16 v13, v9, s6, v38
	v_fma_f16 v9, v9, s7, v38
	v_add_f16_e32 v38, v7, v11
	v_fma_f16 v7, v40, -0.5, v7
	v_sub_f16_e32 v40, v39, v43
	v_add_f16_e32 v45, v42, v34
	v_sub_f16_e32 v34, v42, v34
	v_fma_f16 v42, v40, s7, v7
	v_fma_f16 v7, v40, s6, v7
	v_add_f16_e32 v40, v37, v39
	v_add_f16_e32 v39, v39, v43
	v_fma_f16 v37, v39, -0.5, v37
	v_sub_f16_e32 v11, v11, v15
	v_add_f16_e32 v38, v38, v15
	v_fma_f16 v15, v11, s6, v37
	v_fma_f16 v11, v11, s7, v37
	v_add_f16_e32 v40, v40, v43
	v_mul_f16_e32 v39, 0xbaee, v15
	v_mul_f16_e32 v44, 0xbaee, v11
	v_mul_f16_e32 v15, 0.5, v15
	v_mul_f16_e32 v11, -0.5, v11
	v_add_f16_e32 v49, v4, v48
	v_sub_f16_e32 v4, v4, v48
	v_add_f16_e32 v37, v8, v38
	v_fma_f16 v39, v42, 0.5, v39
	v_fma_f16 v44, v7, -0.5, v44
	v_add_f16_e32 v48, v36, v40
	v_fma_f16 v15, v42, s6, v15
	v_fma_f16 v7, v7, s6, v11
	v_add_f16_e32 v43, v41, v39
	v_add_f16_e32 v42, v13, v15
	;; [unrolled: 1-line block ×3, first 2 shown]
	v_sub_f16_e32 v7, v9, v7
	v_pack_b32_f16 v9, v33, v50
	v_pack_b32_f16 v4, v4, v6
	;; [unrolled: 1-line block ×3, first 2 shown]
	v_add_f16_e32 v46, v5, v44
	v_sub_f16_e32 v13, v13, v15
	v_pack_b32_f16 v15, v47, v45
	ds_write2_b32 v16, v9, v6 offset1:102
	v_pack_b32_f16 v6, v43, v42
	v_sub_f16_e32 v8, v8, v38
	v_sub_f16_e32 v36, v36, v40
	v_pack_b32_f16 v10, v49, v10
	ds_write2_b32 v1, v15, v6 offset0:33 offset1:135
	v_pack_b32_f16 v1, v46, v11
	v_sub_f16_e32 v38, v41, v39
	v_pack_b32_f16 v12, v12, v35
	ds_write2_b32 v17, v10, v1 offset0:66 offset1:168
	v_pack_b32_f16 v1, v8, v36
	;; [unrolled: 4-line block ×3, first 2 shown]
	ds_write2_b32 v31, v14, v1 offset0:132 offset1:234
	v_pack_b32_f16 v1, v5, v7
	ds_write2_b32 v32, v4, v1 offset0:37 offset1:139
	s_and_saveexec_b64 s[4:5], vcc
	s_cbranch_execz .LBB0_23
; %bb.22:
	v_add_u32_e32 v1, 0xcc, v0
	v_add_u32_e32 v4, 0xffffffab, v0
	v_cndmask_b32_e32 v1, v4, v1, vcc
	v_mul_i32_i24_e32 v4, 5, v1
	v_mov_b32_e32 v5, 0
	v_lshlrev_b64 v[4:5], 2, v[4:5]
	v_mov_b32_e32 v1, s9
	v_add_co_u32_e32 v8, vcc, s8, v4
	v_addc_co_u32_e32 v9, vcc, v1, v5, vcc
	global_load_dwordx4 v[4:7], v[8:9], off offset:1088
	global_load_dword v1, v[8:9], off offset:1104
	s_waitcnt vmcnt(1)
	v_mul_f16_sdwa v8, v24, v5 dst_sel:DWORD dst_unused:UNUSED_PAD src0_sel:DWORD src1_sel:WORD_1
	v_mul_f16_sdwa v9, v20, v7 dst_sel:DWORD dst_unused:UNUSED_PAD src0_sel:DWORD src1_sel:WORD_1
	;; [unrolled: 1-line block ×6, first 2 shown]
	s_waitcnt vmcnt(0)
	v_mul_f16_sdwa v14, v30, v1 dst_sel:DWORD dst_unused:UNUSED_PAD src0_sel:DWORD src1_sel:WORD_1
	v_mul_f16_sdwa v15, v21, v6 dst_sel:DWORD dst_unused:UNUSED_PAD src0_sel:DWORD src1_sel:WORD_1
	v_mul_f16_sdwa v17, v29, v1 dst_sel:DWORD dst_unused:UNUSED_PAD src0_sel:DWORD src1_sel:WORD_1
	v_mul_f16_sdwa v18, v26, v4 dst_sel:DWORD dst_unused:UNUSED_PAD src0_sel:DWORD src1_sel:WORD_1
	v_fma_f16 v8, v27, v5, -v8
	v_fma_f16 v9, v23, v7, -v9
	v_fma_f16 v5, v24, v5, v10
	v_fma_f16 v7, v20, v7, v11
	;; [unrolled: 1-line block ×5, first 2 shown]
	v_fma_f16 v6, v25, v6, -v15
	v_fma_f16 v1, v30, v1, -v17
	;; [unrolled: 1-line block ×3, first 2 shown]
	v_add_f16_e32 v18, v6, v1
	v_add_f16_e32 v13, v8, v9
	v_sub_f16_e32 v14, v5, v7
	v_add_f16_e32 v15, v11, v12
	v_sub_f16_e32 v17, v6, v1
	v_sub_f16_e32 v20, v11, v12
	v_add_f16_e32 v21, v22, v8
	v_add_f16_e32 v6, v4, v6
	;; [unrolled: 1-line block ×5, first 2 shown]
	v_fma_f16 v4, v18, -0.5, v4
	v_sub_f16_e32 v8, v8, v9
	v_fma_f16 v13, v13, -0.5, v22
	v_fma_f16 v10, v15, -0.5, v10
	v_add_f16_e32 v9, v21, v9
	v_add_f16_e32 v1, v6, v1
	v_fma_f16 v6, v23, -0.5, v19
	v_add_f16_e32 v5, v5, v7
	v_add_f16_e32 v7, v11, v12
	v_fma_f16 v15, v20, s7, v4
	v_fma_f16 v4, v20, s6, v4
	;; [unrolled: 1-line block ×6, first 2 shown]
	v_sub_f16_e32 v14, v9, v1
	v_fma_f16 v17, v8, s6, v6
	v_fma_f16 v6, v8, s7, v6
	v_sub_f16_e32 v8, v5, v7
	v_add_f16_e32 v1, v9, v1
	v_add_f16_e32 v5, v5, v7
	v_mul_f16_e32 v9, 0.5, v4
	v_mul_f16_e32 v4, 0xbaee, v4
	v_mul_f16_e32 v7, -0.5, v15
	v_mul_f16_e32 v15, 0xbaee, v15
	v_pack_b32_f16 v1, v5, v1
	v_pack_b32_f16 v5, v8, v14
	v_fma_f16 v8, v10, s6, v9
	v_fma_f16 v4, v10, 0.5, v4
	v_fma_f16 v7, v12, s6, v7
	v_fma_f16 v9, v12, -0.5, v15
	ds_write_b32 v16, v1 offset:816
	ds_write_b32 v16, v5 offset:4284
	v_sub_f16_e32 v5, v13, v8
	v_sub_f16_e32 v12, v6, v4
	v_add_f16_e32 v8, v13, v8
	v_add_f16_e32 v4, v6, v4
	v_sub_f16_e32 v1, v11, v7
	v_sub_f16_e32 v10, v17, v9
	v_add_f16_e32 v7, v11, v7
	v_add_f16_e32 v9, v17, v9
	v_pack_b32_f16 v4, v4, v8
	v_pack_b32_f16 v6, v9, v7
	;; [unrolled: 1-line block ×4, first 2 shown]
	ds_write_b32 v16, v4 offset:1972
	ds_write_b32 v16, v6 offset:3128
	;; [unrolled: 1-line block ×4, first 2 shown]
.LBB0_23:
	s_or_b64 exec, exec, s[4:5]
	s_waitcnt lgkmcnt(0)
	s_barrier
	s_and_saveexec_b64 s[4:5], s[0:1]
	s_cbranch_execz .LBB0_25
; %bb.24:
	v_lshl_add_u32 v6, v0, 2, 0
	v_mov_b32_e32 v1, 0
	ds_read2_b32 v[4:5], v6 offset1:102
	v_mov_b32_e32 v7, s3
	v_add_co_u32_e32 v8, vcc, s2, v2
	v_addc_co_u32_e32 v7, vcc, v7, v3, vcc
	v_lshlrev_b64 v[2:3], 2, v[0:1]
	v_add_co_u32_e32 v2, vcc, v8, v2
	v_addc_co_u32_e32 v3, vcc, v7, v3, vcc
	s_waitcnt lgkmcnt(0)
	global_store_dword v[2:3], v4, off
	v_add_u32_e32 v2, 0x66, v0
	v_mov_b32_e32 v3, v1
	v_lshlrev_b64 v[2:3], 2, v[2:3]
	v_add_u32_e32 v4, 0x200, v6
	v_add_co_u32_e32 v2, vcc, v8, v2
	v_addc_co_u32_e32 v3, vcc, v7, v3, vcc
	global_store_dword v[2:3], v5, off
	v_add_u32_e32 v2, 0xcc, v0
	v_mov_b32_e32 v3, v1
	ds_read2_b32 v[4:5], v4 offset0:76 offset1:178
	v_lshlrev_b64 v[2:3], 2, v[2:3]
	v_add_co_u32_e32 v2, vcc, v8, v2
	v_addc_co_u32_e32 v3, vcc, v7, v3, vcc
	s_waitcnt lgkmcnt(0)
	global_store_dword v[2:3], v4, off
	v_add_u32_e32 v2, 0x132, v0
	v_mov_b32_e32 v3, v1
	v_lshlrev_b64 v[2:3], 2, v[2:3]
	v_add_u32_e32 v4, 0x400, v6
	v_add_co_u32_e32 v2, vcc, v8, v2
	v_addc_co_u32_e32 v3, vcc, v7, v3, vcc
	global_store_dword v[2:3], v5, off
	v_add_u32_e32 v2, 0x198, v0
	v_mov_b32_e32 v3, v1
	ds_read2_b32 v[4:5], v4 offset0:152 offset1:254
	;; [unrolled: 15-line block ×7, first 2 shown]
	v_lshlrev_b64 v[2:3], 2, v[2:3]
	v_add_co_u32_e32 v2, vcc, v8, v2
	v_addc_co_u32_e32 v3, vcc, v7, v3, vcc
	s_waitcnt lgkmcnt(0)
	global_store_dword v[2:3], v4, off
	v_add_u32_e32 v2, 0x5fa, v0
	v_mov_b32_e32 v3, v1
	v_lshlrev_b64 v[2:3], 2, v[2:3]
	v_add_u32_e32 v0, 0x660, v0
	v_add_co_u32_e32 v2, vcc, v8, v2
	v_addc_co_u32_e32 v3, vcc, v7, v3, vcc
	global_store_dword v[2:3], v5, off
	ds_read_b32 v2, v6 offset:6528
	v_lshlrev_b64 v[0:1], 2, v[0:1]
	v_add_co_u32_e32 v0, vcc, v8, v0
	v_addc_co_u32_e32 v1, vcc, v7, v1, vcc
	s_waitcnt lgkmcnt(0)
	global_store_dword v[0:1], v2, off
.LBB0_25:
	s_endpgm
	.section	.rodata,"a",@progbits
	.p2align	6, 0x0
	.amdhsa_kernel fft_rtc_back_len1734_factors_17_17_6_wgs_102_tpt_102_halfLds_half_ip_CI_unitstride_sbrr_C2R_dirReg
		.amdhsa_group_segment_fixed_size 0
		.amdhsa_private_segment_fixed_size 0
		.amdhsa_kernarg_size 88
		.amdhsa_user_sgpr_count 6
		.amdhsa_user_sgpr_private_segment_buffer 1
		.amdhsa_user_sgpr_dispatch_ptr 0
		.amdhsa_user_sgpr_queue_ptr 0
		.amdhsa_user_sgpr_kernarg_segment_ptr 1
		.amdhsa_user_sgpr_dispatch_id 0
		.amdhsa_user_sgpr_flat_scratch_init 0
		.amdhsa_user_sgpr_private_segment_size 0
		.amdhsa_uses_dynamic_stack 0
		.amdhsa_system_sgpr_private_segment_wavefront_offset 0
		.amdhsa_system_sgpr_workgroup_id_x 1
		.amdhsa_system_sgpr_workgroup_id_y 0
		.amdhsa_system_sgpr_workgroup_id_z 0
		.amdhsa_system_sgpr_workgroup_info 0
		.amdhsa_system_vgpr_workitem_id 0
		.amdhsa_next_free_vgpr 75
		.amdhsa_next_free_sgpr 31
		.amdhsa_reserve_vcc 1
		.amdhsa_reserve_flat_scratch 0
		.amdhsa_float_round_mode_32 0
		.amdhsa_float_round_mode_16_64 0
		.amdhsa_float_denorm_mode_32 3
		.amdhsa_float_denorm_mode_16_64 3
		.amdhsa_dx10_clamp 1
		.amdhsa_ieee_mode 1
		.amdhsa_fp16_overflow 0
		.amdhsa_exception_fp_ieee_invalid_op 0
		.amdhsa_exception_fp_denorm_src 0
		.amdhsa_exception_fp_ieee_div_zero 0
		.amdhsa_exception_fp_ieee_overflow 0
		.amdhsa_exception_fp_ieee_underflow 0
		.amdhsa_exception_fp_ieee_inexact 0
		.amdhsa_exception_int_div_zero 0
	.end_amdhsa_kernel
	.text
.Lfunc_end0:
	.size	fft_rtc_back_len1734_factors_17_17_6_wgs_102_tpt_102_halfLds_half_ip_CI_unitstride_sbrr_C2R_dirReg, .Lfunc_end0-fft_rtc_back_len1734_factors_17_17_6_wgs_102_tpt_102_halfLds_half_ip_CI_unitstride_sbrr_C2R_dirReg
                                        ; -- End function
	.section	.AMDGPU.csdata,"",@progbits
; Kernel info:
; codeLenInByte = 16320
; NumSgprs: 35
; NumVgprs: 75
; ScratchSize: 0
; MemoryBound: 0
; FloatMode: 240
; IeeeMode: 1
; LDSByteSize: 0 bytes/workgroup (compile time only)
; SGPRBlocks: 4
; VGPRBlocks: 18
; NumSGPRsForWavesPerEU: 35
; NumVGPRsForWavesPerEU: 75
; Occupancy: 3
; WaveLimiterHint : 1
; COMPUTE_PGM_RSRC2:SCRATCH_EN: 0
; COMPUTE_PGM_RSRC2:USER_SGPR: 6
; COMPUTE_PGM_RSRC2:TRAP_HANDLER: 0
; COMPUTE_PGM_RSRC2:TGID_X_EN: 1
; COMPUTE_PGM_RSRC2:TGID_Y_EN: 0
; COMPUTE_PGM_RSRC2:TGID_Z_EN: 0
; COMPUTE_PGM_RSRC2:TIDIG_COMP_CNT: 0
	.type	__hip_cuid_3a0d54f7c9d97bb9,@object ; @__hip_cuid_3a0d54f7c9d97bb9
	.section	.bss,"aw",@nobits
	.globl	__hip_cuid_3a0d54f7c9d97bb9
__hip_cuid_3a0d54f7c9d97bb9:
	.byte	0                               ; 0x0
	.size	__hip_cuid_3a0d54f7c9d97bb9, 1

	.ident	"AMD clang version 19.0.0git (https://github.com/RadeonOpenCompute/llvm-project roc-6.4.0 25133 c7fe45cf4b819c5991fe208aaa96edf142730f1d)"
	.section	".note.GNU-stack","",@progbits
	.addrsig
	.addrsig_sym __hip_cuid_3a0d54f7c9d97bb9
	.amdgpu_metadata
---
amdhsa.kernels:
  - .args:
      - .actual_access:  read_only
        .address_space:  global
        .offset:         0
        .size:           8
        .value_kind:     global_buffer
      - .offset:         8
        .size:           8
        .value_kind:     by_value
      - .actual_access:  read_only
        .address_space:  global
        .offset:         16
        .size:           8
        .value_kind:     global_buffer
      - .actual_access:  read_only
        .address_space:  global
        .offset:         24
        .size:           8
        .value_kind:     global_buffer
      - .offset:         32
        .size:           8
        .value_kind:     by_value
      - .actual_access:  read_only
        .address_space:  global
        .offset:         40
        .size:           8
        .value_kind:     global_buffer
      - .actual_access:  read_only
        .address_space:  global
        .offset:         48
        .size:           8
        .value_kind:     global_buffer
      - .offset:         56
        .size:           4
        .value_kind:     by_value
      - .actual_access:  read_only
        .address_space:  global
        .offset:         64
        .size:           8
        .value_kind:     global_buffer
      - .actual_access:  read_only
        .address_space:  global
        .offset:         72
        .size:           8
        .value_kind:     global_buffer
      - .address_space:  global
        .offset:         80
        .size:           8
        .value_kind:     global_buffer
    .group_segment_fixed_size: 0
    .kernarg_segment_align: 8
    .kernarg_segment_size: 88
    .language:       OpenCL C
    .language_version:
      - 2
      - 0
    .max_flat_workgroup_size: 102
    .name:           fft_rtc_back_len1734_factors_17_17_6_wgs_102_tpt_102_halfLds_half_ip_CI_unitstride_sbrr_C2R_dirReg
    .private_segment_fixed_size: 0
    .sgpr_count:     35
    .sgpr_spill_count: 0
    .symbol:         fft_rtc_back_len1734_factors_17_17_6_wgs_102_tpt_102_halfLds_half_ip_CI_unitstride_sbrr_C2R_dirReg.kd
    .uniform_work_group_size: 1
    .uses_dynamic_stack: false
    .vgpr_count:     75
    .vgpr_spill_count: 0
    .wavefront_size: 64
amdhsa.target:   amdgcn-amd-amdhsa--gfx906
amdhsa.version:
  - 1
  - 2
...

	.end_amdgpu_metadata
